;; amdgpu-corpus repo=ROCm/rocFFT kind=compiled arch=gfx1100 opt=O3
	.text
	.amdgcn_target "amdgcn-amd-amdhsa--gfx1100"
	.amdhsa_code_object_version 6
	.protected	fft_rtc_fwd_len2000_factors_5_5_5_16_wgs_125_tpt_125_halfLds_dp_ip_CI_unitstride_sbrr_R2C_dirReg ; -- Begin function fft_rtc_fwd_len2000_factors_5_5_5_16_wgs_125_tpt_125_halfLds_dp_ip_CI_unitstride_sbrr_R2C_dirReg
	.globl	fft_rtc_fwd_len2000_factors_5_5_5_16_wgs_125_tpt_125_halfLds_dp_ip_CI_unitstride_sbrr_R2C_dirReg
	.p2align	8
	.type	fft_rtc_fwd_len2000_factors_5_5_5_16_wgs_125_tpt_125_halfLds_dp_ip_CI_unitstride_sbrr_R2C_dirReg,@function
fft_rtc_fwd_len2000_factors_5_5_5_16_wgs_125_tpt_125_halfLds_dp_ip_CI_unitstride_sbrr_R2C_dirReg: ; @fft_rtc_fwd_len2000_factors_5_5_5_16_wgs_125_tpt_125_halfLds_dp_ip_CI_unitstride_sbrr_R2C_dirReg
; %bb.0:
	s_clause 0x2
	s_load_b128 s[4:7], s[0:1], 0x0
	s_load_b64 s[8:9], s[0:1], 0x50
	s_load_b64 s[10:11], s[0:1], 0x18
	v_mul_u32_u24_e32 v1, 0x20d, v0
	v_mov_b32_e32 v3, 0
	v_mov_b32_e32 v4, 0
	s_delay_alu instid0(VALU_DEP_3) | instskip(SKIP_1) | instid1(VALU_DEP_1)
	v_lshrrev_b32_e32 v2, 16, v1
	v_mov_b32_e32 v1, 0
	v_dual_mov_b32 v6, v1 :: v_dual_add_nc_u32 v5, s15, v2
	s_waitcnt lgkmcnt(0)
	v_cmp_lt_u64_e64 s2, s[6:7], 2
	s_delay_alu instid0(VALU_DEP_1)
	s_and_b32 vcc_lo, exec_lo, s2
	s_cbranch_vccnz .LBB0_8
; %bb.1:
	s_load_b64 s[2:3], s[0:1], 0x10
	v_mov_b32_e32 v3, 0
	s_add_u32 s12, s10, 8
	v_mov_b32_e32 v4, 0
	s_addc_u32 s13, s11, 0
	s_mov_b64 s[16:17], 1
	s_waitcnt lgkmcnt(0)
	s_add_u32 s14, s2, 8
	s_addc_u32 s15, s3, 0
.LBB0_2:                                ; =>This Inner Loop Header: Depth=1
	s_load_b64 s[18:19], s[14:15], 0x0
                                        ; implicit-def: $vgpr7_vgpr8
	s_mov_b32 s2, exec_lo
	s_waitcnt lgkmcnt(0)
	v_or_b32_e32 v2, s19, v6
	s_delay_alu instid0(VALU_DEP_1)
	v_cmpx_ne_u64_e32 0, v[1:2]
	s_xor_b32 s3, exec_lo, s2
	s_cbranch_execz .LBB0_4
; %bb.3:                                ;   in Loop: Header=BB0_2 Depth=1
	v_cvt_f32_u32_e32 v2, s18
	v_cvt_f32_u32_e32 v7, s19
	s_sub_u32 s2, 0, s18
	s_subb_u32 s20, 0, s19
	s_delay_alu instid0(VALU_DEP_1) | instskip(NEXT) | instid1(VALU_DEP_1)
	v_fmac_f32_e32 v2, 0x4f800000, v7
	v_rcp_f32_e32 v2, v2
	s_waitcnt_depctr 0xfff
	v_mul_f32_e32 v2, 0x5f7ffffc, v2
	s_delay_alu instid0(VALU_DEP_1) | instskip(NEXT) | instid1(VALU_DEP_1)
	v_mul_f32_e32 v7, 0x2f800000, v2
	v_trunc_f32_e32 v7, v7
	s_delay_alu instid0(VALU_DEP_1) | instskip(SKIP_1) | instid1(VALU_DEP_2)
	v_fmac_f32_e32 v2, 0xcf800000, v7
	v_cvt_u32_f32_e32 v7, v7
	v_cvt_u32_f32_e32 v2, v2
	s_delay_alu instid0(VALU_DEP_2) | instskip(NEXT) | instid1(VALU_DEP_2)
	v_mul_lo_u32 v8, s2, v7
	v_mul_hi_u32 v9, s2, v2
	v_mul_lo_u32 v10, s20, v2
	s_delay_alu instid0(VALU_DEP_2) | instskip(SKIP_1) | instid1(VALU_DEP_2)
	v_add_nc_u32_e32 v8, v9, v8
	v_mul_lo_u32 v9, s2, v2
	v_add_nc_u32_e32 v8, v8, v10
	s_delay_alu instid0(VALU_DEP_2) | instskip(NEXT) | instid1(VALU_DEP_2)
	v_mul_hi_u32 v10, v2, v9
	v_mul_lo_u32 v11, v2, v8
	v_mul_hi_u32 v12, v2, v8
	v_mul_hi_u32 v13, v7, v9
	v_mul_lo_u32 v9, v7, v9
	v_mul_hi_u32 v14, v7, v8
	v_mul_lo_u32 v8, v7, v8
	v_add_co_u32 v10, vcc_lo, v10, v11
	v_add_co_ci_u32_e32 v11, vcc_lo, 0, v12, vcc_lo
	s_delay_alu instid0(VALU_DEP_2) | instskip(NEXT) | instid1(VALU_DEP_2)
	v_add_co_u32 v9, vcc_lo, v10, v9
	v_add_co_ci_u32_e32 v9, vcc_lo, v11, v13, vcc_lo
	v_add_co_ci_u32_e32 v10, vcc_lo, 0, v14, vcc_lo
	s_delay_alu instid0(VALU_DEP_2) | instskip(NEXT) | instid1(VALU_DEP_2)
	v_add_co_u32 v8, vcc_lo, v9, v8
	v_add_co_ci_u32_e32 v9, vcc_lo, 0, v10, vcc_lo
	s_delay_alu instid0(VALU_DEP_2) | instskip(NEXT) | instid1(VALU_DEP_2)
	v_add_co_u32 v2, vcc_lo, v2, v8
	v_add_co_ci_u32_e32 v7, vcc_lo, v7, v9, vcc_lo
	s_delay_alu instid0(VALU_DEP_2) | instskip(SKIP_1) | instid1(VALU_DEP_3)
	v_mul_hi_u32 v8, s2, v2
	v_mul_lo_u32 v10, s20, v2
	v_mul_lo_u32 v9, s2, v7
	s_delay_alu instid0(VALU_DEP_1) | instskip(SKIP_1) | instid1(VALU_DEP_2)
	v_add_nc_u32_e32 v8, v8, v9
	v_mul_lo_u32 v9, s2, v2
	v_add_nc_u32_e32 v8, v8, v10
	s_delay_alu instid0(VALU_DEP_2) | instskip(NEXT) | instid1(VALU_DEP_2)
	v_mul_hi_u32 v10, v2, v9
	v_mul_lo_u32 v11, v2, v8
	v_mul_hi_u32 v12, v2, v8
	v_mul_hi_u32 v13, v7, v9
	v_mul_lo_u32 v9, v7, v9
	v_mul_hi_u32 v14, v7, v8
	v_mul_lo_u32 v8, v7, v8
	v_add_co_u32 v10, vcc_lo, v10, v11
	v_add_co_ci_u32_e32 v11, vcc_lo, 0, v12, vcc_lo
	s_delay_alu instid0(VALU_DEP_2) | instskip(NEXT) | instid1(VALU_DEP_2)
	v_add_co_u32 v9, vcc_lo, v10, v9
	v_add_co_ci_u32_e32 v9, vcc_lo, v11, v13, vcc_lo
	v_add_co_ci_u32_e32 v10, vcc_lo, 0, v14, vcc_lo
	s_delay_alu instid0(VALU_DEP_2) | instskip(NEXT) | instid1(VALU_DEP_2)
	v_add_co_u32 v8, vcc_lo, v9, v8
	v_add_co_ci_u32_e32 v9, vcc_lo, 0, v10, vcc_lo
	s_delay_alu instid0(VALU_DEP_2) | instskip(NEXT) | instid1(VALU_DEP_2)
	v_add_co_u32 v2, vcc_lo, v2, v8
	v_add_co_ci_u32_e32 v13, vcc_lo, v7, v9, vcc_lo
	s_delay_alu instid0(VALU_DEP_2) | instskip(SKIP_1) | instid1(VALU_DEP_3)
	v_mul_hi_u32 v14, v5, v2
	v_mad_u64_u32 v[9:10], null, v6, v2, 0
	v_mad_u64_u32 v[7:8], null, v5, v13, 0
	;; [unrolled: 1-line block ×3, first 2 shown]
	s_delay_alu instid0(VALU_DEP_2) | instskip(NEXT) | instid1(VALU_DEP_3)
	v_add_co_u32 v2, vcc_lo, v14, v7
	v_add_co_ci_u32_e32 v7, vcc_lo, 0, v8, vcc_lo
	s_delay_alu instid0(VALU_DEP_2) | instskip(NEXT) | instid1(VALU_DEP_2)
	v_add_co_u32 v2, vcc_lo, v2, v9
	v_add_co_ci_u32_e32 v2, vcc_lo, v7, v10, vcc_lo
	v_add_co_ci_u32_e32 v7, vcc_lo, 0, v12, vcc_lo
	s_delay_alu instid0(VALU_DEP_2) | instskip(NEXT) | instid1(VALU_DEP_2)
	v_add_co_u32 v2, vcc_lo, v2, v11
	v_add_co_ci_u32_e32 v9, vcc_lo, 0, v7, vcc_lo
	s_delay_alu instid0(VALU_DEP_2) | instskip(SKIP_1) | instid1(VALU_DEP_3)
	v_mul_lo_u32 v10, s19, v2
	v_mad_u64_u32 v[7:8], null, s18, v2, 0
	v_mul_lo_u32 v11, s18, v9
	s_delay_alu instid0(VALU_DEP_2) | instskip(NEXT) | instid1(VALU_DEP_2)
	v_sub_co_u32 v7, vcc_lo, v5, v7
	v_add3_u32 v8, v8, v11, v10
	s_delay_alu instid0(VALU_DEP_1) | instskip(NEXT) | instid1(VALU_DEP_1)
	v_sub_nc_u32_e32 v10, v6, v8
	v_subrev_co_ci_u32_e64 v10, s2, s19, v10, vcc_lo
	v_add_co_u32 v11, s2, v2, 2
	s_delay_alu instid0(VALU_DEP_1) | instskip(SKIP_3) | instid1(VALU_DEP_3)
	v_add_co_ci_u32_e64 v12, s2, 0, v9, s2
	v_sub_co_u32 v13, s2, v7, s18
	v_sub_co_ci_u32_e32 v8, vcc_lo, v6, v8, vcc_lo
	v_subrev_co_ci_u32_e64 v10, s2, 0, v10, s2
	v_cmp_le_u32_e32 vcc_lo, s18, v13
	s_delay_alu instid0(VALU_DEP_3) | instskip(SKIP_1) | instid1(VALU_DEP_4)
	v_cmp_eq_u32_e64 s2, s19, v8
	v_cndmask_b32_e64 v13, 0, -1, vcc_lo
	v_cmp_le_u32_e32 vcc_lo, s19, v10
	v_cndmask_b32_e64 v14, 0, -1, vcc_lo
	v_cmp_le_u32_e32 vcc_lo, s18, v7
	;; [unrolled: 2-line block ×3, first 2 shown]
	v_cndmask_b32_e64 v15, 0, -1, vcc_lo
	v_cmp_eq_u32_e32 vcc_lo, s19, v10
	s_delay_alu instid0(VALU_DEP_2) | instskip(SKIP_3) | instid1(VALU_DEP_3)
	v_cndmask_b32_e64 v7, v15, v7, s2
	v_cndmask_b32_e32 v10, v14, v13, vcc_lo
	v_add_co_u32 v13, vcc_lo, v2, 1
	v_add_co_ci_u32_e32 v14, vcc_lo, 0, v9, vcc_lo
	v_cmp_ne_u32_e32 vcc_lo, 0, v10
	s_delay_alu instid0(VALU_DEP_2) | instskip(NEXT) | instid1(VALU_DEP_4)
	v_cndmask_b32_e32 v8, v14, v12, vcc_lo
	v_cndmask_b32_e32 v10, v13, v11, vcc_lo
	v_cmp_ne_u32_e32 vcc_lo, 0, v7
	s_delay_alu instid0(VALU_DEP_2)
	v_dual_cndmask_b32 v7, v2, v10 :: v_dual_cndmask_b32 v8, v9, v8
.LBB0_4:                                ;   in Loop: Header=BB0_2 Depth=1
	s_and_not1_saveexec_b32 s2, s3
	s_cbranch_execz .LBB0_6
; %bb.5:                                ;   in Loop: Header=BB0_2 Depth=1
	v_cvt_f32_u32_e32 v2, s18
	s_sub_i32 s3, 0, s18
	s_delay_alu instid0(VALU_DEP_1) | instskip(SKIP_2) | instid1(VALU_DEP_1)
	v_rcp_iflag_f32_e32 v2, v2
	s_waitcnt_depctr 0xfff
	v_mul_f32_e32 v2, 0x4f7ffffe, v2
	v_cvt_u32_f32_e32 v2, v2
	s_delay_alu instid0(VALU_DEP_1) | instskip(NEXT) | instid1(VALU_DEP_1)
	v_mul_lo_u32 v7, s3, v2
	v_mul_hi_u32 v7, v2, v7
	s_delay_alu instid0(VALU_DEP_1) | instskip(NEXT) | instid1(VALU_DEP_1)
	v_add_nc_u32_e32 v2, v2, v7
	v_mul_hi_u32 v2, v5, v2
	s_delay_alu instid0(VALU_DEP_1) | instskip(SKIP_1) | instid1(VALU_DEP_2)
	v_mul_lo_u32 v7, v2, s18
	v_add_nc_u32_e32 v8, 1, v2
	v_sub_nc_u32_e32 v7, v5, v7
	s_delay_alu instid0(VALU_DEP_1) | instskip(SKIP_1) | instid1(VALU_DEP_2)
	v_subrev_nc_u32_e32 v9, s18, v7
	v_cmp_le_u32_e32 vcc_lo, s18, v7
	v_dual_cndmask_b32 v7, v7, v9 :: v_dual_cndmask_b32 v2, v2, v8
	s_delay_alu instid0(VALU_DEP_1) | instskip(NEXT) | instid1(VALU_DEP_2)
	v_cmp_le_u32_e32 vcc_lo, s18, v7
	v_add_nc_u32_e32 v8, 1, v2
	s_delay_alu instid0(VALU_DEP_1)
	v_dual_cndmask_b32 v7, v2, v8 :: v_dual_mov_b32 v8, v1
.LBB0_6:                                ;   in Loop: Header=BB0_2 Depth=1
	s_or_b32 exec_lo, exec_lo, s2
	s_load_b64 s[2:3], s[12:13], 0x0
	s_delay_alu instid0(VALU_DEP_1) | instskip(NEXT) | instid1(VALU_DEP_2)
	v_mul_lo_u32 v2, v8, s18
	v_mul_lo_u32 v11, v7, s19
	v_mad_u64_u32 v[9:10], null, v7, s18, 0
	s_add_u32 s16, s16, 1
	s_addc_u32 s17, s17, 0
	s_add_u32 s12, s12, 8
	s_addc_u32 s13, s13, 0
	;; [unrolled: 2-line block ×3, first 2 shown]
	s_delay_alu instid0(VALU_DEP_1) | instskip(SKIP_1) | instid1(VALU_DEP_2)
	v_add3_u32 v2, v10, v11, v2
	v_sub_co_u32 v9, vcc_lo, v5, v9
	v_sub_co_ci_u32_e32 v2, vcc_lo, v6, v2, vcc_lo
	s_waitcnt lgkmcnt(0)
	s_delay_alu instid0(VALU_DEP_2) | instskip(NEXT) | instid1(VALU_DEP_2)
	v_mul_lo_u32 v10, s3, v9
	v_mul_lo_u32 v2, s2, v2
	v_mad_u64_u32 v[5:6], null, s2, v9, v[3:4]
	v_cmp_ge_u64_e64 s2, s[16:17], s[6:7]
	s_delay_alu instid0(VALU_DEP_1) | instskip(NEXT) | instid1(VALU_DEP_2)
	s_and_b32 vcc_lo, exec_lo, s2
	v_add3_u32 v4, v10, v6, v2
	s_delay_alu instid0(VALU_DEP_3)
	v_mov_b32_e32 v3, v5
	s_cbranch_vccnz .LBB0_9
; %bb.7:                                ;   in Loop: Header=BB0_2 Depth=1
	v_dual_mov_b32 v5, v7 :: v_dual_mov_b32 v6, v8
	s_branch .LBB0_2
.LBB0_8:
	v_dual_mov_b32 v8, v6 :: v_dual_mov_b32 v7, v5
.LBB0_9:
	s_lshl_b64 s[2:3], s[6:7], 3
	v_mul_hi_u32 v1, 0x20c49bb, v0
	s_add_u32 s2, s10, s2
	s_addc_u32 s3, s11, s3
	s_load_b64 s[0:1], s[0:1], 0x20
	s_load_b64 s[2:3], s[2:3], 0x0
	s_delay_alu instid0(VALU_DEP_1) | instskip(NEXT) | instid1(VALU_DEP_1)
	v_mul_u32_u24_e32 v1, 0x7d, v1
	v_sub_nc_u32_e32 v80, v0, v1
	s_delay_alu instid0(VALU_DEP_1)
	v_add_nc_u32_e32 v82, 0x7d, v80
	v_add_nc_u32_e32 v87, 0xfa, v80
	;; [unrolled: 1-line block ×3, first 2 shown]
	s_waitcnt lgkmcnt(0)
	v_cmp_gt_u64_e32 vcc_lo, s[0:1], v[7:8]
	v_mul_lo_u32 v2, s2, v8
	v_mul_lo_u32 v5, s3, v7
	v_mad_u64_u32 v[0:1], null, s2, v7, v[3:4]
	v_cmp_le_u64_e64 s0, s[0:1], v[7:8]
	s_delay_alu instid0(VALU_DEP_2) | instskip(NEXT) | instid1(VALU_DEP_2)
	v_add3_u32 v1, v5, v1, v2
	s_and_saveexec_b32 s1, s0
	s_delay_alu instid0(SALU_CYCLE_1)
	s_xor_b32 s0, exec_lo, s1
; %bb.10:
	v_add_nc_u32_e32 v82, 0x7d, v80
	v_add_nc_u32_e32 v87, 0xfa, v80
	;; [unrolled: 1-line block ×3, first 2 shown]
; %bb.11:
	s_or_saveexec_b32 s1, s0
	v_lshlrev_b64 v[84:85], 4, v[0:1]
	v_lshl_add_u32 v89, v80, 4, 0
	s_xor_b32 exec_lo, exec_lo, s1
	s_cbranch_execz .LBB0_13
; %bb.12:
	v_mov_b32_e32 v81, 0
	s_delay_alu instid0(VALU_DEP_3) | instskip(NEXT) | instid1(VALU_DEP_1)
	v_add_co_u32 v2, s0, s8, v84
	v_add_co_ci_u32_e64 v3, s0, s9, v85, s0
	s_delay_alu instid0(VALU_DEP_3) | instskip(NEXT) | instid1(VALU_DEP_1)
	v_lshlrev_b64 v[0:1], 4, v[80:81]
	v_add_co_u32 v40, s0, v2, v0
	s_delay_alu instid0(VALU_DEP_1) | instskip(SKIP_4) | instid1(VALU_DEP_1)
	v_add_co_ci_u32_e64 v41, s0, v3, v1, s0
	s_clause 0x1
	global_load_b128 v[0:3], v[40:41], off
	global_load_b128 v[4:7], v[40:41], off offset:2000
	v_add_co_u32 v16, s0, 0x1000, v40
	v_add_co_ci_u32_e64 v17, s0, 0, v41, s0
	v_add_co_u32 v24, s0, 0x2000, v40
	s_delay_alu instid0(VALU_DEP_1) | instskip(SKIP_1) | instid1(VALU_DEP_1)
	v_add_co_ci_u32_e64 v25, s0, 0, v41, s0
	v_add_co_u32 v32, s0, 0x3000, v40
	v_add_co_ci_u32_e64 v33, s0, 0, v41, s0
	v_add_co_u32 v42, s0, 0x4000, v40
	s_delay_alu instid0(VALU_DEP_1) | instskip(SKIP_1) | instid1(VALU_DEP_1)
	v_add_co_ci_u32_e64 v43, s0, 0, v41, s0
	;; [unrolled: 5-line block ×3, first 2 shown]
	v_add_co_u32 v60, s0, 0x7000, v40
	v_add_co_ci_u32_e64 v61, s0, 0, v41, s0
	s_clause 0xd
	global_load_b128 v[8:11], v[40:41], off offset:4000
	global_load_b128 v[12:15], v[16:17], off offset:1904
	;; [unrolled: 1-line block ×14, first 2 shown]
	s_waitcnt vmcnt(15)
	ds_store_b128 v89, v[0:3]
	s_waitcnt vmcnt(14)
	ds_store_b128 v89, v[4:7] offset:2000
	s_waitcnt vmcnt(13)
	ds_store_b128 v89, v[8:11] offset:4000
	;; [unrolled: 2-line block ×15, first 2 shown]
.LBB0_13:
	s_or_b32 exec_lo, exec_lo, s1
	s_waitcnt lgkmcnt(0)
	s_barrier
	buffer_gl0_inv
	ds_load_b128 v[8:11], v89 offset:6400
	ds_load_b128 v[0:3], v89
	ds_load_b128 v[4:7], v89 offset:2000
	ds_load_b128 v[12:15], v89 offset:8400
	;; [unrolled: 1-line block ×18, first 2 shown]
	s_mov_b32 s2, 0x134454ff
	s_mov_b32 s3, 0x3fee6f0e
	;; [unrolled: 1-line block ×6, first 2 shown]
	s_waitcnt lgkmcnt(18)
	v_add_f64 v[90:91], v[0:1], v[8:9]
	v_add_f64 v[92:93], v[2:3], v[10:11]
	s_waitcnt lgkmcnt(16)
	v_add_f64 v[94:95], v[4:5], v[12:13]
	v_add_f64 v[96:97], v[6:7], v[14:15]
	s_waitcnt lgkmcnt(15)
	v_add_f64 v[104:105], v[8:9], -v[24:25]
	s_waitcnt lgkmcnt(13)
	v_add_f64 v[98:99], v[24:25], v[32:33]
	v_add_f64 v[102:103], v[26:27], -v[34:35]
	s_waitcnt lgkmcnt(11)
	v_add_f64 v[100:101], v[10:11], -v[42:43]
	v_add_f64 v[112:113], v[8:9], v[40:41]
	v_add_f64 v[114:115], v[24:25], -v[8:9]
	v_add_f64 v[118:119], v[26:27], v[34:35]
	v_add_f64 v[124:125], v[24:25], -v[32:33]
	v_add_f64 v[126:127], v[10:11], -v[26:27]
	v_add_f64 v[130:131], v[10:11], v[42:43]
	v_add_f64 v[10:11], v[26:27], -v[10:11]
	s_waitcnt lgkmcnt(7)
	v_add_f64 v[108:109], v[48:49], v[56:57]
	v_add_f64 v[106:107], v[40:41], -v[32:33]
	v_add_f64 v[110:111], v[50:51], v[58:59]
	v_add_f64 v[116:117], v[32:33], -v[40:41]
	s_waitcnt lgkmcnt(6)
	v_add_f64 v[120:121], v[52:53], v[60:61]
	v_add_f64 v[122:123], v[54:55], v[62:63]
	;; [unrolled: 1-line block ×3, first 2 shown]
	v_add_f64 v[136:137], v[14:15], -v[46:47]
	v_add_f64 v[138:139], v[30:31], -v[38:39]
	v_add_f64 v[144:145], v[30:31], v[38:39]
	v_add_f64 v[146:147], v[14:15], -v[30:31]
	v_add_f64 v[148:149], v[14:15], v[46:47]
	v_add_f64 v[14:15], v[30:31], -v[14:15]
	s_waitcnt lgkmcnt(1)
	v_add_f64 v[150:151], v[56:57], v[20:21]
	v_add_f64 v[152:153], v[66:67], v[74:75]
	;; [unrolled: 1-line block ×5, first 2 shown]
	v_add_f64 v[8:9], v[8:9], -v[40:41]
	v_add_f64 v[164:165], v[56:57], -v[64:65]
	;; [unrolled: 1-line block ×5, first 2 shown]
	v_add_f64 v[24:25], v[90:91], v[24:25]
	v_add_f64 v[26:27], v[92:93], v[26:27]
	;; [unrolled: 1-line block ×6, first 2 shown]
	v_fma_f64 v[98:99], v[98:99], -0.5, v[0:1]
	v_add_f64 v[132:133], v[34:35], -v[42:43]
	v_fma_f64 v[0:1], v[112:113], -0.5, v[0:1]
	s_waitcnt lgkmcnt(0)
	v_add_f64 v[112:113], v[62:63], v[18:19]
	v_fma_f64 v[118:119], v[118:119], -0.5, v[2:3]
	v_add_f64 v[140:141], v[12:13], -v[28:29]
	v_add_f64 v[94:95], v[44:45], -v[36:37]
	;; [unrolled: 1-line block ×4, first 2 shown]
	v_add_f64 v[64:65], v[108:109], v[64:65]
	v_add_f64 v[12:13], v[12:13], -v[44:45]
	v_add_f64 v[156:157], v[36:37], -v[44:45]
	;; [unrolled: 1-line block ×7, first 2 shown]
	v_add_f64 v[66:67], v[110:111], v[66:67]
	v_add_f64 v[110:111], v[120:121], v[68:69]
	;; [unrolled: 1-line block ×3, first 2 shown]
	v_add_f64 v[122:123], v[60:61], -v[68:69]
	v_add_f64 v[180:181], v[68:69], -v[60:61]
	v_fma_f64 v[2:3], v[130:131], -0.5, v[2:3]
	v_add_f64 v[68:69], v[68:69], -v[76:77]
	v_add_f64 v[130:131], v[62:63], -v[70:71]
	v_fma_f64 v[134:135], v[134:135], -0.5, v[4:5]
	v_fma_f64 v[144:145], v[144:145], -0.5, v[6:7]
	;; [unrolled: 1-line block ×7, first 2 shown]
	v_add_f64 v[24:25], v[24:25], v[32:33]
	v_add_f64 v[26:27], v[26:27], v[34:35]
	;; [unrolled: 1-line block ×5, first 2 shown]
	v_add_f64 v[92:93], v[70:71], -v[78:79]
	v_add_f64 v[70:71], v[70:71], -v[62:63]
	v_add_f64 v[62:63], v[62:63], -v[18:19]
	v_add_f64 v[60:61], v[60:61], -v[16:17]
	v_fma_f64 v[96:97], v[96:97], -0.5, v[4:5]
	v_fma_f64 v[30:31], v[30:31], -0.5, v[48:49]
	;; [unrolled: 1-line block ×3, first 2 shown]
	v_fma_f64 v[150:151], v[100:101], s[2:3], v[98:99]
	v_fma_f64 v[98:99], v[100:101], s[0:1], v[98:99]
	v_add_f64 v[174:175], v[20:21], -v[72:73]
	v_add_f64 v[108:109], v[72:73], -v[20:21]
	v_fma_f64 v[178:179], v[8:9], s[0:1], v[118:119]
	v_add_f64 v[64:65], v[64:65], v[72:73]
	v_fma_f64 v[72:73], v[8:9], s[2:3], v[118:119]
	s_mov_b32 s11, 0xbfe2cf23
	s_mov_b32 s10, s6
	v_add_f64 v[158:159], v[46:47], -v[38:39]
	v_add_f64 v[160:161], v[38:39], -v[46:47]
	;; [unrolled: 1-line block ×6, first 2 shown]
	v_add_f64 v[66:67], v[66:67], v[74:75]
	v_add_f64 v[74:75], v[110:111], v[76:77]
	;; [unrolled: 1-line block ×6, first 2 shown]
	v_fma_f64 v[118:119], v[28:29], s[0:1], v[148:149]
	v_lshl_add_u32 v81, v80, 6, v89
	v_mad_i32_i24 v83, 0x50, v82, 0
	s_barrier
	v_add_f64 v[4:5], v[24:25], v[40:41]
	v_add_f64 v[6:7], v[26:27], v[42:43]
	;; [unrolled: 1-line block ×3, first 2 shown]
	v_fma_f64 v[40:41], v[102:103], s[0:1], v[0:1]
	v_fma_f64 v[42:43], v[90:91], -0.5, v[52:53]
	v_fma_f64 v[0:1], v[102:103], s[2:3], v[0:1]
	v_fma_f64 v[44:45], v[112:113], -0.5, v[54:55]
	v_add_f64 v[26:27], v[34:35], v[46:47]
	v_add_f64 v[32:33], v[18:19], -v[78:79]
	v_add_f64 v[34:35], v[78:79], -v[18:19]
	v_add_f64 v[46:47], v[104:105], v[106:107]
	v_add_f64 v[52:53], v[126:127], v[128:129]
	v_fma_f64 v[54:55], v[124:125], s[2:3], v[2:3]
	v_fma_f64 v[2:3], v[124:125], s[0:1], v[2:3]
	v_fma_f64 v[78:79], v[136:137], s[2:3], v[134:135]
	v_fma_f64 v[104:105], v[136:137], s[0:1], v[134:135]
	v_fma_f64 v[110:111], v[138:139], s[0:1], v[96:97]
	v_fma_f64 v[112:113], v[28:29], s[2:3], v[148:149]
	v_fma_f64 v[120:121], v[102:103], s[6:7], v[150:151]
	v_fma_f64 v[98:99], v[102:103], s[10:11], v[98:99]
	v_fma_f64 v[102:103], v[58:59], s[2:3], v[30:31]
	v_fma_f64 v[126:127], v[56:57], s[0:1], v[152:153]
	v_fma_f64 v[30:31], v[58:59], s[0:1], v[30:31]
	v_fma_f64 v[128:129], v[56:57], s[2:3], v[152:153]
	v_fma_f64 v[116:117], v[62:63], s[2:3], v[154:155]
	v_fma_f64 v[132:133], v[60:61], s[0:1], v[176:177]
	v_fma_f64 v[148:149], v[62:63], s[0:1], v[154:155]
	v_fma_f64 v[150:151], v[60:61], s[2:3], v[176:177]
	v_fma_f64 v[96:97], v[138:139], s[2:3], v[96:97]
	v_fma_f64 v[90:91], v[12:13], s[0:1], v[144:145]
	v_fma_f64 v[106:107], v[12:13], s[2:3], v[144:145]
	v_fma_f64 v[134:135], v[124:125], s[10:11], v[178:179]
	v_fma_f64 v[144:145], v[162:163], s[0:1], v[48:49]
	v_fma_f64 v[72:73], v[124:125], s[6:7], v[72:73]
	v_fma_f64 v[124:125], v[168:169], s[2:3], v[50:51]
	v_fma_f64 v[48:49], v[162:163], s[2:3], v[48:49]
	v_fma_f64 v[50:51], v[168:169], s[0:1], v[50:51]
	v_add_f64 v[140:141], v[146:147], v[158:159]
	v_add_f64 v[14:15], v[14:15], v[160:161]
	;; [unrolled: 1-line block ×4, first 2 shown]
	v_fma_f64 v[40:41], v[100:101], s[6:7], v[40:41]
	v_fma_f64 v[152:153], v[92:93], s[0:1], v[42:43]
	;; [unrolled: 1-line block ×6, first 2 shown]
	v_add_f64 v[130:131], v[130:131], v[32:33]
	v_add_f64 v[158:159], v[70:71], v[34:35]
	;; [unrolled: 1-line block ×3, first 2 shown]
	v_fma_f64 v[54:55], v[8:9], s[10:11], v[54:55]
	v_fma_f64 v[8:9], v[8:9], s[6:7], v[2:3]
	;; [unrolled: 1-line block ×4, first 2 shown]
	v_add_f64 v[138:139], v[142:143], v[156:157]
	v_fma_f64 v[110:111], v[136:137], s[6:7], v[110:111]
	v_fma_f64 v[112:113], v[12:13], s[10:11], v[112:113]
	;; [unrolled: 1-line block ×3, first 2 shown]
	v_add_f64 v[118:119], v[164:165], v[174:175]
	v_fma_f64 v[102:103], v[162:163], s[6:7], v[102:103]
	v_fma_f64 v[142:143], v[162:163], s[10:11], v[30:31]
	;; [unrolled: 1-line block ×7, first 2 shown]
	v_add_f64 v[150:151], v[180:181], v[184:185]
	v_fma_f64 v[96:97], v[136:137], s[10:11], v[96:97]
	v_add_f64 v[136:137], v[170:171], v[36:37]
	v_fma_f64 v[106:107], v[28:29], s[6:7], v[106:107]
	v_fma_f64 v[144:145], v[58:59], s[6:7], v[144:145]
	;; [unrolled: 1-line block ×7, first 2 shown]
	s_mov_b32 s0, 0x372fe950
	s_mov_b32 s1, 0x3fd3c6ef
	v_add_f64 v[28:29], v[64:65], v[20:21]
	v_add_f64 v[30:31], v[66:67], v[22:23]
	v_fma_f64 v[152:153], v[62:63], s[6:7], v[152:153]
	v_add_f64 v[2:3], v[76:77], v[18:19]
	v_fma_f64 v[160:161], v[60:61], s[10:11], v[0:1]
	v_fma_f64 v[162:163], v[62:63], s[10:11], v[42:43]
	;; [unrolled: 1-line block ×3, first 2 shown]
	v_add_f64 v[0:1], v[74:75], v[16:17]
	v_fma_f64 v[32:33], v[46:47], s[0:1], v[120:121]
	v_fma_f64 v[36:37], v[46:47], s[0:1], v[98:99]
	;; [unrolled: 1-line block ×28, first 2 shown]
	v_mad_i32_i24 v91, 0x50, v87, 0
	buffer_gl0_inv
	ds_store_b128 v81, v[4:7]
	ds_store_b128 v81, v[32:35] offset:16
	ds_store_b128 v81, v[40:43] offset:32
	;; [unrolled: 1-line block ×4, first 2 shown]
	ds_store_b128 v83, v[24:27]
	ds_store_b128 v83, v[48:51] offset:16
	v_fma_f64 v[12:13], v[150:151], s[0:1], v[152:153]
	v_fma_f64 v[14:15], v[158:159], s[0:1], v[160:161]
	;; [unrolled: 1-line block ×4, first 2 shown]
	v_cmp_gt_u32_e64 s0, 25, v80
	ds_store_b128 v83, v[56:59] offset:32
	ds_store_b128 v83, v[60:63] offset:48
	;; [unrolled: 1-line block ×3, first 2 shown]
	ds_store_b128 v91, v[28:31]
	ds_store_b128 v91, v[64:67] offset:16
	ds_store_b128 v91, v[72:75] offset:32
	;; [unrolled: 1-line block ×4, first 2 shown]
	s_and_saveexec_b32 s1, s0
	s_cbranch_execz .LBB0_15
; %bb.14:
	v_mad_i32_i24 v4, 0x50, v86, 0
	ds_store_b128 v4, v[0:3]
	ds_store_b128 v4, v[8:11] offset:16
	ds_store_b128 v4, v[12:15] offset:32
	;; [unrolled: 1-line block ×4, first 2 shown]
.LBB0_15:
	s_or_b32 exec_lo, exec_lo, s1
	v_lshlrev_b32_e32 v95, 6, v82
	v_lshlrev_b32_e32 v92, 6, v87
	s_waitcnt lgkmcnt(0)
	s_barrier
	buffer_gl0_inv
	v_sub_nc_u32_e32 v4, v83, v95
	v_sub_nc_u32_e32 v5, v91, v92
	ds_load_b128 v[24:27], v89
	ds_load_b128 v[76:79], v89 offset:6400
	ds_load_b128 v[72:75], v89 offset:12800
	;; [unrolled: 1-line block ×5, first 2 shown]
	ds_load_b128 v[28:31], v4
	ds_load_b128 v[4:7], v5
	ds_load_b128 v[60:63], v89 offset:8400
	ds_load_b128 v[44:47], v89 offset:10400
	;; [unrolled: 1-line block ×7, first 2 shown]
	v_lshl_add_u32 v90, v86, 4, 0
	s_and_saveexec_b32 s1, s0
	s_cbranch_execz .LBB0_17
; %bb.16:
	ds_load_b128 v[0:3], v90
	ds_load_b128 v[8:11], v89 offset:12400
	ds_load_b128 v[12:15], v89 offset:18800
	;; [unrolled: 1-line block ×4, first 2 shown]
.LBB0_17:
	s_or_b32 exec_lo, exec_lo, s1
	v_and_b32_e32 v93, 0xff, v80
	v_and_b32_e32 v88, 0xff, v82
	s_mov_b32 s12, 0x134454ff
	s_mov_b32 s13, 0x3fee6f0e
	;; [unrolled: 1-line block ×3, first 2 shown]
	v_mul_lo_u16 v81, 0xcd, v93
	v_mul_lo_u16 v94, 0xcd, v88
	s_mov_b32 s14, s12
	s_mov_b32 s10, s6
	;; [unrolled: 1-line block ×3, first 2 shown]
	v_lshrrev_b16 v97, 10, v81
	v_lshrrev_b16 v98, 10, v94
	s_mov_b32 s3, 0x3fd3c6ef
	s_delay_alu instid0(VALU_DEP_2) | instskip(NEXT) | instid1(VALU_DEP_2)
	v_mul_lo_u16 v81, v97, 5
	v_mul_lo_u16 v94, v98, 5
	s_delay_alu instid0(VALU_DEP_2) | instskip(NEXT) | instid1(VALU_DEP_2)
	v_sub_nc_u16 v81, v80, v81
	v_sub_nc_u16 v99, v82, v94
	v_and_b32_e32 v94, 0xffff, v87
	s_delay_alu instid0(VALU_DEP_3) | instskip(NEXT) | instid1(VALU_DEP_3)
	v_and_b32_e32 v96, 0xff, v81
	v_and_b32_e32 v99, 0xff, v99
	s_delay_alu instid0(VALU_DEP_3) | instskip(NEXT) | instid1(VALU_DEP_3)
	v_mul_u32_u24_e32 v100, 0xcccd, v94
	v_lshlrev_b32_e32 v81, 6, v96
	s_delay_alu instid0(VALU_DEP_3) | instskip(NEXT) | instid1(VALU_DEP_3)
	v_lshlrev_b32_e32 v102, 6, v99
	v_lshrrev_b32_e32 v100, 18, v100
	s_clause 0x3
	global_load_b128 v[104:107], v81, s[4:5]
	global_load_b128 v[108:111], v81, s[4:5] offset:16
	global_load_b128 v[112:115], v81, s[4:5] offset:32
	;; [unrolled: 1-line block ×3, first 2 shown]
	v_and_b32_e32 v81, 0xffff, v86
	v_mul_lo_u16 v103, v100, 5
	s_clause 0x1
	global_load_b128 v[120:123], v102, s[4:5]
	global_load_b128 v[124:127], v102, s[4:5] offset:16
	v_mul_u32_u24_e32 v101, 0xcccd, v81
	v_sub_nc_u16 v103, v87, v103
	s_delay_alu instid0(VALU_DEP_2) | instskip(NEXT) | instid1(VALU_DEP_2)
	v_lshrrev_b32_e32 v101, 18, v101
	v_and_b32_e32 v103, 0xffff, v103
	s_delay_alu instid0(VALU_DEP_2) | instskip(NEXT) | instid1(VALU_DEP_2)
	v_mul_lo_u16 v128, v101, 5
	v_lshlrev_b32_e32 v148, 6, v103
	s_delay_alu instid0(VALU_DEP_2)
	v_sub_nc_u16 v140, v86, v128
	s_clause 0x2
	global_load_b128 v[128:131], v102, s[4:5] offset:32
	global_load_b128 v[132:135], v102, s[4:5] offset:48
	global_load_b128 v[136:139], v148, s[4:5]
	v_and_b32_e32 v102, 0xffff, v140
	s_clause 0x1
	global_load_b128 v[140:143], v148, s[4:5] offset:16
	global_load_b128 v[144:147], v148, s[4:5] offset:32
	v_lshlrev_b32_e32 v164, 6, v102
	s_clause 0x4
	global_load_b128 v[148:151], v148, s[4:5] offset:48
	global_load_b128 v[152:155], v164, s[4:5]
	global_load_b128 v[156:159], v164, s[4:5] offset:16
	global_load_b128 v[160:163], v164, s[4:5] offset:32
	;; [unrolled: 1-line block ×3, first 2 shown]
	s_waitcnt vmcnt(0) lgkmcnt(0)
	s_barrier
	buffer_gl0_inv
	v_mul_f64 v[168:169], v[78:79], v[106:107]
	v_mul_f64 v[106:107], v[76:77], v[106:107]
	;; [unrolled: 1-line block ×11, first 2 shown]
	v_fma_f64 v[76:77], v[76:77], v[104:105], -v[168:169]
	v_fma_f64 v[104:105], v[78:79], v[104:105], v[106:107]
	v_mul_f64 v[106:107], v[56:57], v[126:127]
	v_mul_f64 v[126:127], v[54:55], v[130:131]
	v_mul_f64 v[168:169], v[50:51], v[134:135]
	v_mul_f64 v[130:131], v[52:53], v[130:131]
	v_fma_f64 v[78:79], v[72:73], v[108:109], -v[170:171]
	v_fma_f64 v[74:75], v[74:75], v[108:109], v[110:111]
	v_mul_f64 v[108:109], v[48:49], v[134:135]
	v_mul_f64 v[110:111], v[46:47], v[138:139]
	v_mul_f64 v[134:135], v[44:45], v[138:139]
	v_mul_f64 v[138:139], v[38:39], v[142:143]
	;; [unrolled: 6-line block ×5, first 2 shown]
	v_fma_f64 v[162:163], v[56:57], v[124:125], -v[178:179]
	v_fma_f64 v[58:59], v[58:59], v[124:125], v[106:107]
	v_mul_f64 v[106:107], v[20:21], v[166:167]
	v_fma_f64 v[56:57], v[52:53], v[128:129], -v[126:127]
	v_fma_f64 v[48:49], v[48:49], v[132:133], -v[168:169]
	v_fma_f64 v[52:53], v[54:55], v[128:129], v[130:131]
	v_add_f64 v[124:125], v[104:105], -v[74:75]
	v_fma_f64 v[50:51], v[50:51], v[132:133], v[108:109]
	v_fma_f64 v[54:55], v[44:45], v[136:137], -v[110:111]
	v_fma_f64 v[46:47], v[46:47], v[136:137], v[134:135]
	v_fma_f64 v[108:109], v[36:37], v[140:141], -v[138:139]
	v_fma_f64 v[110:111], v[38:39], v[140:141], v[112:113]
	v_fma_f64 v[44:45], v[40:41], v[144:145], -v[114:115]
	v_fma_f64 v[36:37], v[42:43], v[144:145], v[142:143]
	v_fma_f64 v[32:33], v[32:33], v[148:149], -v[146:147]
	v_add_f64 v[42:43], v[104:105], -v[64:65]
	v_fma_f64 v[34:35], v[34:35], v[148:149], v[66:67]
	v_fma_f64 v[66:67], v[8:9], v[152:153], -v[116:117]
	v_fma_f64 v[112:113], v[10:11], v[152:153], v[118:119]
	v_fma_f64 v[114:115], v[12:13], v[156:157], -v[150:151]
	v_add_f64 v[12:13], v[78:79], v[72:73]
	v_add_f64 v[136:137], v[70:71], -v[64:65]
	v_fma_f64 v[116:117], v[14:15], v[156:157], v[120:121]
	v_fma_f64 v[38:39], v[16:17], v[160:161], -v[122:123]
	v_fma_f64 v[40:41], v[18:19], v[160:161], v[154:155]
	v_fma_f64 v[8:9], v[20:21], v[164:165], -v[158:159]
	v_add_f64 v[14:15], v[76:77], -v[78:79]
	v_add_f64 v[16:17], v[68:69], -v[72:73]
	v_add_f64 v[18:19], v[76:77], v[68:69]
	v_add_f64 v[20:21], v[78:79], -v[76:77]
	v_add_f64 v[120:121], v[104:105], v[64:65]
	v_add_f64 v[122:123], v[26:27], v[104:105]
	v_add_f64 v[104:105], v[74:75], -v[104:105]
	v_add_f64 v[140:141], v[60:61], -v[162:163]
	v_add_f64 v[118:119], v[74:75], v[70:71]
	v_add_f64 v[134:135], v[64:65], -v[70:71]
	v_add_f64 v[138:139], v[28:29], v[60:61]
	v_fma_f64 v[10:11], v[22:23], v[164:165], v[106:107]
	v_add_f64 v[22:23], v[72:73], -v[68:69]
	v_add_f64 v[142:143], v[48:49], -v[56:57]
	v_add_f64 v[106:107], v[24:25], v[76:77]
	v_add_f64 v[126:127], v[162:163], v[56:57]
	;; [unrolled: 1-line block ×4, first 2 shown]
	v_add_f64 v[144:145], v[162:163], -v[60:61]
	v_add_f64 v[146:147], v[56:57], -v[48:49]
	v_add_f64 v[148:149], v[30:31], v[62:63]
	v_add_f64 v[150:151], v[62:63], -v[58:59]
	v_add_f64 v[152:153], v[50:51], -v[52:53]
	v_add_f64 v[154:155], v[58:59], -v[62:63]
	v_add_f64 v[156:157], v[52:53], -v[50:51]
	v_add_f64 v[158:159], v[4:5], v[54:55]
	v_add_f64 v[160:161], v[108:109], v[44:45]
	v_add_f64 v[164:165], v[54:55], -v[108:109]
	v_add_f64 v[166:167], v[32:33], -v[44:45]
	v_add_f64 v[168:169], v[54:55], v[32:33]
	v_add_f64 v[176:177], v[110:111], v[36:37]
	;; [unrolled: 1-line block ×3, first 2 shown]
	v_fma_f64 v[190:191], v[12:13], -0.5, v[24:25]
	v_add_f64 v[132:133], v[62:63], v[50:51]
	v_add_f64 v[170:171], v[108:109], -v[54:55]
	v_add_f64 v[194:195], v[114:115], v[38:39]
	v_add_f64 v[172:173], v[44:45], -v[32:33]
	v_add_f64 v[198:199], v[66:67], v[8:9]
	v_add_f64 v[174:175], v[6:7], v[46:47]
	;; [unrolled: 1-line block ×3, first 2 shown]
	v_fma_f64 v[192:193], v[18:19], -0.5, v[24:25]
	v_add_f64 v[178:179], v[46:47], -v[110:111]
	v_add_f64 v[180:181], v[34:35], -v[36:37]
	v_add_f64 v[184:185], v[110:111], -v[46:47]
	v_add_f64 v[18:19], v[104:105], v[136:137]
	v_add_f64 v[104:105], v[116:117], v[40:41]
	v_add_f64 v[186:187], v[36:37], -v[34:35]
	v_add_f64 v[188:189], v[0:1], v[66:67]
	v_fma_f64 v[118:119], v[118:119], -0.5, v[26:27]
	v_fma_f64 v[120:121], v[120:121], -0.5, v[26:27]
	v_add_f64 v[14:15], v[20:21], v[22:23]
	v_add_f64 v[20:21], v[140:141], v[142:143]
	;; [unrolled: 1-line block ×3, first 2 shown]
	v_add_f64 v[196:197], v[66:67], -v[114:115]
	v_fma_f64 v[126:127], v[126:127], -0.5, v[28:29]
	v_fma_f64 v[128:129], v[128:129], -0.5, v[28:29]
	;; [unrolled: 1-line block ×3, first 2 shown]
	v_add_f64 v[200:201], v[114:115], -v[66:67]
	v_add_f64 v[16:17], v[124:125], v[134:135]
	v_add_f64 v[124:125], v[2:3], v[112:113]
	v_add_f64 v[134:135], v[112:113], -v[116:117]
	v_add_f64 v[22:23], v[144:145], v[146:147]
	v_add_f64 v[136:137], v[10:11], -v[40:41]
	v_add_f64 v[24:25], v[150:151], v[152:153]
	v_add_f64 v[26:27], v[154:155], v[156:157]
	v_add_f64 v[142:143], v[116:117], -v[112:113]
	v_add_f64 v[28:29], v[164:165], v[166:167]
	v_add_f64 v[144:145], v[40:41], -v[10:11]
	v_add_f64 v[106:107], v[106:107], v[78:79]
	v_add_f64 v[122:123], v[122:123], v[74:75]
	v_add_f64 v[74:75], v[74:75], -v[70:71]
	v_add_f64 v[76:77], v[76:77], -v[68:69]
	;; [unrolled: 1-line block ×4, first 2 shown]
	v_add_f64 v[146:147], v[148:149], v[58:59]
	v_add_f64 v[58:59], v[58:59], -v[52:53]
	v_add_f64 v[60:61], v[60:61], -v[48:49]
	v_add_f64 v[138:139], v[138:139], v[162:163]
	v_add_f64 v[148:149], v[162:163], -v[56:57]
	v_add_f64 v[46:47], v[46:47], -v[34:35]
	v_add_f64 v[152:153], v[110:111], -v[36:37]
	v_add_f64 v[54:55], v[54:55], -v[32:33]
	v_add_f64 v[154:155], v[158:159], v[108:109]
	v_add_f64 v[108:109], v[108:109], -v[44:45]
	v_add_f64 v[112:113], v[112:113], -v[10:11]
	;; [unrolled: 1-line block ×4, first 2 shown]
	v_fma_f64 v[158:159], v[160:161], -0.5, v[4:5]
	v_fma_f64 v[4:5], v[168:169], -0.5, v[4:5]
	v_add_f64 v[162:163], v[114:115], -v[38:39]
	v_fma_f64 v[164:165], v[176:177], -0.5, v[6:7]
	v_fma_f64 v[6:7], v[182:183], -0.5, v[6:7]
	;; [unrolled: 1-line block ×7, first 2 shown]
	v_add_f64 v[132:133], v[8:9], -v[38:39]
	v_add_f64 v[202:203], v[38:39], -v[8:9]
	v_add_f64 v[150:151], v[170:171], v[172:173]
	v_add_f64 v[110:111], v[174:175], v[110:111]
	;; [unrolled: 1-line block ×9, first 2 shown]
	v_fma_f64 v[106:107], v[42:43], s[12:13], v[190:191]
	v_fma_f64 v[136:137], v[42:43], s[14:15], v[190:191]
	v_fma_f64 v[140:141], v[74:75], s[14:15], v[192:193]
	v_fma_f64 v[142:143], v[74:75], s[12:13], v[192:193]
	v_add_f64 v[70:71], v[122:123], v[70:71]
	v_fma_f64 v[122:123], v[76:77], s[14:15], v[118:119]
	v_fma_f64 v[118:119], v[76:77], s[12:13], v[118:119]
	v_fma_f64 v[144:145], v[78:79], s[12:13], v[120:121]
	v_fma_f64 v[120:121], v[78:79], s[14:15], v[120:121]
	v_add_f64 v[56:57], v[138:139], v[56:57]
	;; [unrolled: 5-line block ×3, first 2 shown]
	v_fma_f64 v[146:147], v[60:61], s[14:15], v[130:131]
	v_fma_f64 v[130:131], v[60:61], s[12:13], v[130:131]
	v_add_f64 v[44:45], v[154:155], v[44:45]
	v_fma_f64 v[154:155], v[46:47], s[12:13], v[158:159]
	v_fma_f64 v[158:159], v[46:47], s[14:15], v[158:159]
	v_fma_f64 v[176:177], v[152:153], s[14:15], v[4:5]
	v_fma_f64 v[4:5], v[152:153], s[12:13], v[4:5]
	v_fma_f64 v[178:179], v[54:55], s[14:15], v[164:165]
	v_fma_f64 v[164:165], v[54:55], s[12:13], v[164:165]
	v_fma_f64 v[180:181], v[108:109], s[12:13], v[6:7]
	v_fma_f64 v[6:7], v[108:109], s[14:15], v[6:7]
	v_fma_f64 v[182:183], v[112:113], s[12:13], v[168:169]
	v_fma_f64 v[168:169], v[112:113], s[14:15], v[168:169]
	v_fma_f64 v[184:185], v[156:157], s[14:15], v[0:1]
	v_fma_f64 v[0:1], v[156:157], s[12:13], v[0:1]
	v_fma_f64 v[186:187], v[66:67], s[14:15], v[104:105]
	v_fma_f64 v[104:105], v[66:67], s[12:13], v[104:105]
	v_fma_f64 v[188:189], v[162:163], s[12:13], v[2:3]
	v_fma_f64 v[2:3], v[162:163], s[14:15], v[2:3]
	v_fma_f64 v[174:175], v[148:149], s[12:13], v[30:31]
	v_fma_f64 v[30:31], v[148:149], s[14:15], v[30:31]
	v_add_f64 v[132:133], v[196:197], v[132:133]
	v_add_f64 v[170:171], v[200:201], v[202:203]
	;; [unrolled: 1-line block ×6, first 2 shown]
	v_fma_f64 v[68:69], v[74:75], s[6:7], v[106:107]
	v_fma_f64 v[72:73], v[74:75], s[10:11], v[136:137]
	;; [unrolled: 1-line block ×4, first 2 shown]
	v_add_f64 v[38:39], v[70:71], v[64:65]
	v_fma_f64 v[64:65], v[78:79], s[10:11], v[122:123]
	v_fma_f64 v[70:71], v[78:79], s[6:7], v[118:119]
	;; [unrolled: 1-line block ×28, first 2 shown]
	v_add_f64 v[40:41], v[56:57], v[48:49]
	v_add_f64 v[42:43], v[52:53], v[50:51]
	;; [unrolled: 1-line block ×5, first 2 shown]
	v_fma_f64 v[44:45], v[12:13], s[2:3], v[68:69]
	v_fma_f64 v[48:49], v[12:13], s[2:3], v[72:73]
	;; [unrolled: 1-line block ×4, first 2 shown]
	v_add_f64 v[32:33], v[110:111], v[34:35]
	v_fma_f64 v[46:47], v[16:17], s[2:3], v[64:65]
	v_fma_f64 v[50:51], v[16:17], s[2:3], v[70:71]
	;; [unrolled: 1-line block ×10, first 2 shown]
	v_and_b32_e32 v34, 0xffff, v97
	v_fma_f64 v[72:73], v[28:29], s[2:3], v[140:141]
	v_fma_f64 v[104:105], v[150:151], s[2:3], v[4:5]
	v_sub_nc_u32_e32 v24, 0, v95
	v_fma_f64 v[74:75], v[160:161], s[2:3], v[108:109]
	v_fma_f64 v[76:77], v[150:151], s[2:3], v[142:143]
	;; [unrolled: 1-line block ×16, first 2 shown]
	v_and_b32_e32 v35, 0xffff, v98
	v_mul_u32_u24_e32 v34, 0x190, v34
	v_lshlrev_b32_e32 v95, 4, v96
	v_sub_nc_u32_e32 v25, 0, v92
	v_mul_u32_u24_e32 v92, 0x190, v100
	v_mul_u32_u24_e32 v35, 0x190, v35
	v_lshlrev_b32_e32 v96, 4, v99
	v_lshlrev_b32_e32 v97, 4, v103
	v_add3_u32 v34, 0, v34, v95
	s_delay_alu instid0(VALU_DEP_3) | instskip(NEXT) | instid1(VALU_DEP_3)
	v_add3_u32 v35, 0, v35, v96
	v_add3_u32 v92, 0, v92, v97
	ds_store_b128 v34, v[36:39]
	ds_store_b128 v34, v[44:47] offset:80
	ds_store_b128 v34, v[52:55] offset:160
	ds_store_b128 v34, v[56:59] offset:240
	ds_store_b128 v34, v[48:51] offset:320
	ds_store_b128 v35, v[40:43]
	ds_store_b128 v35, v[60:63] offset:80
	ds_store_b128 v35, v[64:67] offset:160
	ds_store_b128 v35, v[68:71] offset:240
	ds_store_b128 v35, v[20:23] offset:320
	;; [unrolled: 5-line block ×3, first 2 shown]
	s_and_saveexec_b32 s1, s0
	s_cbranch_execz .LBB0_19
; %bb.18:
	v_mul_lo_u16 v20, v101, 25
	v_lshlrev_b32_e32 v21, 4, v102
	s_delay_alu instid0(VALU_DEP_2) | instskip(NEXT) | instid1(VALU_DEP_1)
	v_and_b32_e32 v20, 0xffff, v20
	v_lshlrev_b32_e32 v20, 4, v20
	s_delay_alu instid0(VALU_DEP_1)
	v_add3_u32 v20, 0, v21, v20
	ds_store_b128 v20, v[0:3]
	ds_store_b128 v20, v[4:7] offset:80
	ds_store_b128 v20, v[8:11] offset:160
	;; [unrolled: 1-line block ×4, first 2 shown]
.LBB0_19:
	s_or_b32 exec_lo, exec_lo, s1
	v_add_nc_u32_e32 v92, v83, v24
	s_waitcnt lgkmcnt(0)
	s_barrier
	buffer_gl0_inv
	ds_load_b128 v[20:23], v89
	ds_load_b128 v[56:59], v89 offset:6400
	v_add_nc_u32_e32 v91, v91, v25
	ds_load_b128 v[68:71], v89 offset:12800
	ds_load_b128 v[44:47], v89 offset:14800
	ds_load_b128 v[72:75], v89 offset:25600
	ds_load_b128 v[32:35], v89 offset:27600
	ds_load_b128 v[28:31], v92
	ds_load_b128 v[24:27], v91
	ds_load_b128 v[60:63], v89 offset:8400
	ds_load_b128 v[36:39], v89 offset:10400
	;; [unrolled: 1-line block ×7, first 2 shown]
	s_and_saveexec_b32 s1, s0
	s_cbranch_execz .LBB0_21
; %bb.20:
	ds_load_b128 v[0:3], v90
	ds_load_b128 v[4:7], v89 offset:12400
	ds_load_b128 v[8:11], v89 offset:18800
	;; [unrolled: 1-line block ×4, first 2 shown]
.LBB0_21:
	s_or_b32 exec_lo, exec_lo, s1
	v_mul_u32_u24_e32 v83, 0x47af, v94
	v_mul_lo_u16 v93, v93, 41
	v_mul_lo_u16 v88, v88, 41
	s_mov_b32 s6, 0x134454ff
	s_mov_b32 s7, 0x3fee6f0e
	v_lshrrev_b32_e32 v83, 16, v83
	v_lshrrev_b16 v96, 10, v93
	v_lshrrev_b16 v94, 10, v88
	s_mov_b32 s11, 0xbfee6f0e
	s_mov_b32 s10, s6
	v_sub_nc_u16 v93, v87, v83
	v_mul_lo_u16 v88, v96, 25
	v_mul_lo_u16 v95, v94, 25
	s_mov_b32 s2, 0x4755a5e
	s_mov_b32 s3, 0x3fe2cf23
	v_lshrrev_b16 v93, 1, v93
	v_sub_nc_u16 v88, v80, v88
	s_mov_b32 s13, 0xbfe2cf23
	s_mov_b32 s12, s2
	;; [unrolled: 1-line block ×3, first 2 shown]
	v_add_nc_u16 v83, v93, v83
	v_sub_nc_u16 v93, v82, v95
	v_and_b32_e32 v95, 0xff, v88
	s_mov_b32 s15, 0x3fd3c6ef
	v_and_b32_e32 v96, 0xffff, v96
	v_lshrrev_b16 v88, 4, v83
	v_and_b32_e32 v83, 0xff, v93
	v_lshlrev_b32_e32 v93, 6, v95
	v_and_b32_e32 v94, 0xffff, v94
	v_mul_u32_u24_e32 v96, 0x7d0, v96
	v_mul_lo_u16 v105, v88, 25
	s_clause 0x1
	global_load_b128 v[97:100], v93, s[4:5] offset:320
	global_load_b128 v[101:104], v93, s[4:5] offset:336
	v_lshlrev_b32_e32 v125, 6, v83
	v_lshlrev_b32_e32 v95, 4, v95
	v_sub_nc_u16 v113, v87, v105
	s_clause 0x1
	global_load_b128 v[105:108], v93, s[4:5] offset:352
	global_load_b128 v[109:112], v93, s[4:5] offset:368
	v_and_b32_e32 v88, 0xffff, v88
	v_mul_u32_u24_e32 v94, 0x7d0, v94
	v_lshlrev_b32_e32 v83, 4, v83
	v_and_b32_e32 v93, 0xffff, v113
	s_clause 0x3
	global_load_b128 v[113:116], v125, s[4:5] offset:320
	global_load_b128 v[117:120], v125, s[4:5] offset:336
	;; [unrolled: 1-line block ×4, first 2 shown]
	v_add3_u32 v95, 0, v96, v95
	v_mul_u32_u24_e32 v88, 0x7d0, v88
	v_add3_u32 v83, 0, v94, v83
	v_lshlrev_b32_e32 v141, 6, v93
	v_lshlrev_b32_e32 v93, 4, v93
	s_clause 0x3
	global_load_b128 v[129:132], v141, s[4:5] offset:320
	global_load_b128 v[133:136], v141, s[4:5] offset:336
	global_load_b128 v[137:140], v141, s[4:5] offset:352
	global_load_b128 v[141:144], v141, s[4:5] offset:368
	s_waitcnt vmcnt(0) lgkmcnt(0)
	s_barrier
	buffer_gl0_inv
	v_add3_u32 v88, 0, v88, v93
	v_mul_f64 v[145:146], v[58:59], v[99:100]
	v_mul_f64 v[99:100], v[56:57], v[99:100]
	;; [unrolled: 1-line block ×24, first 2 shown]
	v_fma_f64 v[145:146], v[56:57], v[97:98], -v[145:146]
	v_fma_f64 v[97:98], v[58:59], v[97:98], v[99:100]
	v_fma_f64 v[99:100], v[68:69], v[101:102], -v[147:148]
	v_fma_f64 v[70:71], v[70:71], v[101:102], v[103:104]
	v_fma_f64 v[68:69], v[76:77], v[105:106], -v[149:150]
	v_fma_f64 v[56:57], v[72:73], v[109:110], -v[151:152]
	v_fma_f64 v[72:73], v[78:79], v[105:106], v[107:108]
	v_fma_f64 v[58:59], v[74:75], v[109:110], v[111:112]
	v_fma_f64 v[44:45], v[44:45], v[117:118], -v[153:154]
	v_fma_f64 v[64:65], v[64:65], v[121:122], -v[155:156]
	v_fma_f64 v[46:47], v[46:47], v[117:118], v[119:120]
	;; [unrolled: 4-line block ×3, first 2 shown]
	v_fma_f64 v[34:35], v[34:35], v[125:126], v[127:128]
	v_fma_f64 v[74:75], v[36:37], v[129:130], -v[161:162]
	v_fma_f64 v[40:41], v[40:41], v[133:134], -v[163:164]
	;; [unrolled: 1-line block ×3, first 2 shown]
	v_fma_f64 v[42:43], v[42:43], v[133:134], v[135:136]
	v_fma_f64 v[50:51], v[50:51], v[137:138], v[139:140]
	;; [unrolled: 1-line block ×3, first 2 shown]
	v_fma_f64 v[36:37], v[52:53], v[141:142], -v[167:168]
	v_fma_f64 v[38:39], v[54:55], v[141:142], v[143:144]
	v_add_f64 v[54:55], v[20:21], v[145:146]
	v_add_f64 v[125:126], v[22:23], v[97:98]
	v_add_f64 v[109:110], v[145:146], -v[99:100]
	v_add_f64 v[117:118], v[99:100], -v[145:146]
	v_add_f64 v[52:53], v[99:100], v[68:69]
	v_add_f64 v[78:79], v[145:146], v[56:57]
	;; [unrolled: 1-line block ×4, first 2 shown]
	v_add_f64 v[101:102], v[97:98], -v[58:59]
	v_add_f64 v[111:112], v[44:45], v[64:65]
	v_add_f64 v[113:114], v[56:57], -v[68:69]
	v_add_f64 v[119:120], v[46:47], v[66:67]
	;; [unrolled: 2-line block ×4, first 2 shown]
	v_add_f64 v[145:146], v[28:29], v[60:61]
	v_add_f64 v[159:160], v[30:31], v[62:63]
	;; [unrolled: 1-line block ×5, first 2 shown]
	v_add_f64 v[105:106], v[70:71], -v[72:73]
	v_add_f64 v[131:132], v[74:75], v[36:37]
	v_add_f64 v[137:138], v[76:77], v[38:39]
	v_add_f64 v[133:134], v[99:100], -v[68:69]
	v_add_f64 v[139:140], v[97:98], -v[70:71]
	;; [unrolled: 1-line block ×3, first 2 shown]
	v_add_f64 v[165:166], v[26:27], v[76:77]
	v_add_f64 v[147:148], v[62:63], -v[34:35]
	v_add_f64 v[151:152], v[60:61], -v[44:45]
	;; [unrolled: 1-line block ×10, first 2 shown]
	v_add_f64 v[54:55], v[54:55], v[99:100]
	v_add_f64 v[70:71], v[125:126], v[70:71]
	v_add_f64 v[167:168], v[62:63], -v[46:47]
	v_add_f64 v[62:63], v[46:47], -v[62:63]
	v_fma_f64 v[52:53], v[52:53], -0.5, v[20:21]
	v_fma_f64 v[20:21], v[78:79], -0.5, v[20:21]
	v_fma_f64 v[103:104], v[103:104], -0.5, v[22:23]
	v_fma_f64 v[22:23], v[107:108], -0.5, v[22:23]
	v_add_f64 v[171:172], v[74:75], -v[40:41]
	v_fma_f64 v[111:112], v[111:112], -0.5, v[28:29]
	v_add_f64 v[74:75], v[40:41], -v[74:75]
	v_fma_f64 v[119:120], v[119:120], -0.5, v[30:31]
	v_add_f64 v[99:100], v[109:110], v[113:114]
	v_fma_f64 v[28:29], v[115:116], -0.5, v[28:29]
	v_add_f64 v[115:116], v[42:43], -v[50:51]
	v_fma_f64 v[30:31], v[123:124], -0.5, v[30:31]
	v_add_f64 v[109:110], v[117:118], v[121:122]
	v_add_f64 v[44:45], v[145:146], v[44:45]
	v_fma_f64 v[127:128], v[127:128], -0.5, v[24:25]
	v_add_f64 v[46:47], v[159:160], v[46:47]
	v_fma_f64 v[135:136], v[135:136], -0.5, v[26:27]
	v_add_f64 v[175:176], v[76:77], -v[42:43]
	v_fma_f64 v[24:25], v[131:132], -0.5, v[24:25]
	v_add_f64 v[131:132], v[40:41], -v[48:49]
	v_fma_f64 v[26:27], v[137:138], -0.5, v[26:27]
	v_add_f64 v[40:41], v[163:164], v[40:41]
	v_add_f64 v[76:77], v[42:43], -v[76:77]
	v_add_f64 v[113:114], v[139:140], v[141:142]
	v_add_f64 v[42:43], v[165:166], v[42:43]
	v_add_f64 v[137:138], v[48:49], -v[36:37]
	v_add_f64 v[179:180], v[50:51], -v[38:39]
	;; [unrolled: 1-line block ×6, first 2 shown]
	v_add_f64 v[97:98], v[97:98], v[143:144]
	v_add_f64 v[123:124], v[36:37], -v[48:49]
	v_add_f64 v[177:178], v[38:39], -v[50:51]
	v_add_f64 v[54:55], v[54:55], v[68:69]
	v_add_f64 v[68:69], v[70:71], v[72:73]
	v_fma_f64 v[117:118], v[101:102], s[6:7], v[52:53]
	v_fma_f64 v[52:53], v[101:102], s[10:11], v[52:53]
	;; [unrolled: 1-line block ×24, first 2 shown]
	v_add_f64 v[44:45], v[44:45], v[64:65]
	v_add_f64 v[46:47], v[46:47], v[66:67]
	;; [unrolled: 1-line block ×12, first 2 shown]
	v_fma_f64 v[48:49], v[105:106], s[2:3], v[117:118]
	v_fma_f64 v[50:51], v[105:106], s[12:13], v[52:53]
	;; [unrolled: 1-line block ×24, first 2 shown]
	v_add_f64 v[20:21], v[54:55], v[56:57]
	v_add_f64 v[22:23], v[68:69], v[58:59]
	;; [unrolled: 1-line block ×6, first 2 shown]
	v_fma_f64 v[32:33], v[99:100], s[14:15], v[48:49]
	v_fma_f64 v[36:37], v[99:100], s[14:15], v[50:51]
	;; [unrolled: 1-line block ×24, first 2 shown]
	ds_store_b128 v95, v[20:23]
	ds_store_b128 v95, v[32:35] offset:400
	ds_store_b128 v95, v[40:43] offset:800
	ds_store_b128 v95, v[44:47] offset:1200
	ds_store_b128 v95, v[36:39] offset:1600
	ds_store_b128 v83, v[24:27]
	ds_store_b128 v83, v[48:51] offset:400
	ds_store_b128 v83, v[56:59] offset:800
	ds_store_b128 v83, v[60:63] offset:1200
	ds_store_b128 v83, v[52:55] offset:1600
	;; [unrolled: 5-line block ×3, first 2 shown]
	s_and_saveexec_b32 s1, s0
	s_cbranch_execz .LBB0_23
; %bb.22:
	v_mul_u32_u24_e32 v20, 0x47af, v81
	s_delay_alu instid0(VALU_DEP_1) | instskip(NEXT) | instid1(VALU_DEP_1)
	v_lshrrev_b32_e32 v20, 16, v20
	v_sub_nc_u16 v21, v86, v20
	s_delay_alu instid0(VALU_DEP_1) | instskip(NEXT) | instid1(VALU_DEP_1)
	v_lshrrev_b16 v21, 1, v21
	v_add_nc_u16 v20, v21, v20
	s_delay_alu instid0(VALU_DEP_1) | instskip(NEXT) | instid1(VALU_DEP_1)
	v_lshrrev_b16 v20, 4, v20
	v_mul_lo_u16 v20, v20, 25
	s_delay_alu instid0(VALU_DEP_1) | instskip(NEXT) | instid1(VALU_DEP_1)
	v_sub_nc_u16 v20, v86, v20
	v_and_b32_e32 v52, 0xffff, v20
	s_delay_alu instid0(VALU_DEP_1)
	v_lshlrev_b32_e32 v32, 6, v52
	s_clause 0x3
	global_load_b128 v[20:23], v32, s[4:5] offset:336
	global_load_b128 v[24:27], v32, s[4:5] offset:320
	;; [unrolled: 1-line block ×4, first 2 shown]
	s_waitcnt vmcnt(3)
	v_mul_f64 v[36:37], v[8:9], v[22:23]
	s_waitcnt vmcnt(2)
	v_mul_f64 v[38:39], v[4:5], v[26:27]
	;; [unrolled: 2-line block ×4, first 2 shown]
	v_mul_f64 v[22:23], v[10:11], v[22:23]
	v_mul_f64 v[34:35], v[14:15], v[34:35]
	;; [unrolled: 1-line block ×4, first 2 shown]
	v_fma_f64 v[10:11], v[10:11], v[20:21], v[36:37]
	v_fma_f64 v[6:7], v[6:7], v[24:25], v[38:39]
	;; [unrolled: 1-line block ×4, first 2 shown]
	v_fma_f64 v[8:9], v[8:9], v[20:21], -v[22:23]
	v_fma_f64 v[12:13], v[12:13], v[32:33], -v[34:35]
	;; [unrolled: 1-line block ×4, first 2 shown]
	v_add_f64 v[32:33], v[2:3], v[6:7]
	v_add_f64 v[20:21], v[6:7], v[18:19]
	;; [unrolled: 1-line block ×3, first 2 shown]
	v_add_f64 v[36:37], v[10:11], -v[14:15]
	v_add_f64 v[24:25], v[8:9], v[12:13]
	v_add_f64 v[34:35], v[0:1], v[4:5]
	;; [unrolled: 1-line block ×3, first 2 shown]
	v_add_f64 v[28:29], v[4:5], -v[16:17]
	v_add_f64 v[30:31], v[8:9], -v[12:13]
	;; [unrolled: 1-line block ×8, first 2 shown]
	v_fma_f64 v[20:21], v[20:21], -0.5, v[2:3]
	v_fma_f64 v[2:3], v[22:23], -0.5, v[2:3]
	v_add_f64 v[22:23], v[6:7], -v[18:19]
	v_fma_f64 v[24:25], v[24:25], -0.5, v[0:1]
	v_add_f64 v[8:9], v[34:35], v[8:9]
	v_fma_f64 v[0:1], v[26:27], -0.5, v[0:1]
	v_add_f64 v[26:27], v[10:11], -v[6:7]
	v_add_f64 v[6:7], v[6:7], -v[10:11]
	v_add_f64 v[10:11], v[32:33], v[10:11]
	v_fma_f64 v[32:33], v[30:31], s[10:11], v[20:21]
	v_fma_f64 v[20:21], v[30:31], s[6:7], v[20:21]
	;; [unrolled: 1-line block ×8, first 2 shown]
	v_add_f64 v[26:27], v[26:27], v[38:39]
	v_add_f64 v[38:39], v[6:7], v[40:41]
	;; [unrolled: 1-line block ×6, first 2 shown]
	v_fma_f64 v[8:9], v[28:29], s[2:3], v[32:33]
	v_fma_f64 v[10:11], v[28:29], s[12:13], v[20:21]
	;; [unrolled: 1-line block ×8, first 2 shown]
	v_add_f64 v[2:3], v[4:5], v[18:19]
	v_add_f64 v[0:1], v[6:7], v[16:17]
	v_fma_f64 v[6:7], v[26:27], s[14:15], v[8:9]
	v_fma_f64 v[10:11], v[26:27], s[14:15], v[10:11]
	;; [unrolled: 1-line block ×8, first 2 shown]
	v_lshl_add_u32 v20, v52, 4, 0
	ds_store_b128 v20, v[0:3] offset:30000
	ds_store_b128 v20, v[16:19] offset:30400
	;; [unrolled: 1-line block ×5, first 2 shown]
.LBB0_23:
	s_or_b32 exec_lo, exec_lo, s1
	v_mul_u32_u24_e32 v0, 15, v80
	s_waitcnt lgkmcnt(0)
	s_barrier
	buffer_gl0_inv
	s_mov_b32 s0, 0x667f3bcd
	v_lshlrev_b32_e32 v56, 4, v0
	s_mov_b32 s1, 0xbfe6a09e
	s_mov_b32 s3, 0x3fe6a09e
	;; [unrolled: 1-line block ×4, first 2 shown]
	s_clause 0xe
	global_load_b128 v[0:3], v56, s[4:5] offset:1920
	global_load_b128 v[4:7], v56, s[4:5] offset:1936
	;; [unrolled: 1-line block ×15, first 2 shown]
	ds_load_b128 v[60:63], v92
	ds_load_b128 v[64:67], v91
	;; [unrolled: 1-line block ×3, first 2 shown]
	ds_load_b128 v[72:75], v89 offset:8000
	ds_load_b128 v[76:79], v89 offset:10000
	;; [unrolled: 1-line block ×12, first 2 shown]
	s_mov_b32 s7, 0xbfed906b
	s_mov_b32 s15, 0x3fed906b
	;; [unrolled: 1-line block ×7, first 2 shown]
	s_waitcnt vmcnt(14) lgkmcnt(14)
	v_mul_f64 v[133:134], v[62:63], v[2:3]
	v_mul_f64 v[2:3], v[60:61], v[2:3]
	s_waitcnt vmcnt(13) lgkmcnt(13)
	v_mul_f64 v[135:136], v[66:67], v[6:7]
	v_mul_f64 v[6:7], v[64:65], v[6:7]
	;; [unrolled: 3-line block ×9, first 2 shown]
	s_waitcnt vmcnt(5)
	v_mul_f64 v[151:152], v[111:112], v[38:39]
	v_mul_f64 v[38:39], v[109:110], v[38:39]
	s_waitcnt vmcnt(4) lgkmcnt(1)
	v_mul_f64 v[153:154], v[127:128], v[42:43]
	v_mul_f64 v[42:43], v[125:126], v[42:43]
	s_waitcnt vmcnt(3)
	v_mul_f64 v[155:156], v[107:108], v[46:47]
	v_mul_f64 v[46:47], v[105:106], v[46:47]
	s_waitcnt vmcnt(2)
	;; [unrolled: 3-line block ×3, first 2 shown]
	v_mul_f64 v[159:160], v[115:116], v[54:55]
	v_mul_f64 v[54:55], v[113:114], v[54:55]
	s_waitcnt vmcnt(0) lgkmcnt(0)
	v_mul_f64 v[161:162], v[129:130], v[58:59]
	v_mul_f64 v[58:59], v[131:132], v[58:59]
	v_fma_f64 v[60:61], v[60:61], v[0:1], -v[133:134]
	v_fma_f64 v[62:63], v[62:63], v[0:1], v[2:3]
	v_fma_f64 v[64:65], v[64:65], v[4:5], -v[135:136]
	v_fma_f64 v[4:5], v[66:67], v[4:5], v[6:7]
	;; [unrolled: 2-line block ×14, first 2 shown]
	v_fma_f64 v[54:55], v[131:132], v[56:57], v[161:162]
	v_fma_f64 v[56:57], v[129:130], v[56:57], -v[58:59]
	ds_load_b128 v[0:3], v89
	s_waitcnt lgkmcnt(0)
	s_barrier
	buffer_gl0_inv
	v_add_f64 v[26:27], v[0:1], -v[26:27]
	v_add_f64 v[28:29], v[2:3], -v[28:29]
	;; [unrolled: 1-line block ×16, first 2 shown]
	v_fma_f64 v[0:1], v[0:1], 2.0, -v[26:27]
	v_fma_f64 v[2:3], v[2:3], 2.0, -v[28:29]
	v_add_f64 v[66:67], v[28:29], v[30:31]
	v_add_f64 v[58:59], v[26:27], -v[32:33]
	v_fma_f64 v[10:11], v[10:11], 2.0, -v[30:31]
	v_fma_f64 v[12:13], v[12:13], 2.0, -v[32:33]
	v_add_f64 v[70:71], v[36:37], v[38:39]
	v_add_f64 v[68:69], v[34:35], -v[40:41]
	;; [unrolled: 4-line block ×3, first 2 shown]
	v_fma_f64 v[18:19], v[18:19], 2.0, -v[38:39]
	v_fma_f64 v[20:21], v[20:21], 2.0, -v[40:41]
	v_add_f64 v[76:77], v[50:51], -v[54:55]
	v_add_f64 v[78:79], v[52:53], v[56:57]
	v_fma_f64 v[32:33], v[60:61], 2.0, -v[42:43]
	v_fma_f64 v[38:39], v[62:63], 2.0, -v[44:45]
	;; [unrolled: 1-line block ×10, first 2 shown]
	v_add_f64 v[10:11], v[0:1], -v[10:11]
	v_add_f64 v[12:13], v[2:3], -v[12:13]
	v_fma_f64 v[36:37], v[36:37], 2.0, -v[70:71]
	v_fma_f64 v[34:35], v[34:35], 2.0, -v[68:69]
	v_fma_f64 v[48:49], v[68:69], s[2:3], v[58:59]
	v_fma_f64 v[40:41], v[42:43], 2.0, -v[72:73]
	v_fma_f64 v[42:43], v[44:45], 2.0, -v[74:75]
	v_add_f64 v[18:19], v[30:31], -v[18:19]
	v_fma_f64 v[44:45], v[50:51], 2.0, -v[76:77]
	v_fma_f64 v[46:47], v[52:53], 2.0, -v[78:79]
	v_add_f64 v[20:21], v[4:5], -v[20:21]
	v_fma_f64 v[50:51], v[70:71], s[2:3], v[66:67]
	v_add_f64 v[14:15], v[32:33], -v[14:15]
	v_add_f64 v[16:17], v[38:39], -v[16:17]
	v_fma_f64 v[52:53], v[76:77], s[2:3], v[72:73]
	v_fma_f64 v[54:55], v[78:79], s[2:3], v[74:75]
	v_add_f64 v[24:25], v[8:9], -v[24:25]
	v_add_f64 v[22:23], v[6:7], -v[22:23]
	v_fma_f64 v[0:1], v[0:1], 2.0, -v[10:11]
	v_fma_f64 v[2:3], v[2:3], 2.0, -v[12:13]
	v_fma_f64 v[60:61], v[36:37], s[0:1], v[28:29]
	v_fma_f64 v[56:57], v[34:35], s[0:1], v[26:27]
	v_fma_f64 v[48:49], v[70:71], s[0:1], v[48:49]
	v_fma_f64 v[30:31], v[30:31], 2.0, -v[18:19]
	v_fma_f64 v[62:63], v[44:45], s[0:1], v[40:41]
	v_fma_f64 v[64:65], v[46:47], s[0:1], v[42:43]
	v_fma_f64 v[4:5], v[4:5], 2.0, -v[20:21]
	v_add_f64 v[93:94], v[10:11], -v[20:21]
	v_add_f64 v[95:96], v[12:13], v[18:19]
	v_fma_f64 v[50:51], v[68:69], s[2:3], v[50:51]
	v_fma_f64 v[52:53], v[78:79], s[0:1], v[52:53]
	;; [unrolled: 1-line block ×3, first 2 shown]
	v_add_f64 v[18:19], v[14:15], -v[24:25]
	v_add_f64 v[20:21], v[16:17], v[22:23]
	v_fma_f64 v[32:33], v[32:33], 2.0, -v[14:15]
	v_fma_f64 v[38:39], v[38:39], 2.0, -v[16:17]
	;; [unrolled: 1-line block ×4, first 2 shown]
	v_fma_f64 v[60:61], v[34:35], s[2:3], v[60:61]
	v_fma_f64 v[56:57], v[36:37], s[0:1], v[56:57]
	v_fma_f64 v[58:59], v[58:59], 2.0, -v[48:49]
	v_fma_f64 v[22:23], v[46:47], s[0:1], v[62:63]
	v_fma_f64 v[24:25], v[44:45], s[2:3], v[64:65]
	v_add_f64 v[44:45], v[0:1], -v[30:31]
	v_fma_f64 v[62:63], v[10:11], 2.0, -v[93:94]
	v_fma_f64 v[64:65], v[12:13], 2.0, -v[95:96]
	;; [unrolled: 1-line block ×4, first 2 shown]
	v_add_f64 v[46:47], v[2:3], -v[4:5]
	v_fma_f64 v[14:15], v[14:15], 2.0, -v[18:19]
	v_fma_f64 v[12:13], v[16:17], 2.0, -v[20:21]
	;; [unrolled: 1-line block ×3, first 2 shown]
	v_fma_f64 v[4:5], v[18:19], s[2:3], v[93:94]
	v_add_f64 v[10:11], v[32:33], -v[6:7]
	v_add_f64 v[8:9], v[38:39], -v[8:9]
	v_fma_f64 v[6:7], v[20:21], s[2:3], v[95:96]
	v_fma_f64 v[36:37], v[54:55], s[14:15], v[50:51]
	v_fma_f64 v[70:71], v[28:29], 2.0, -v[60:61]
	v_fma_f64 v[68:69], v[26:27], 2.0, -v[56:57]
	v_fma_f64 v[26:27], v[52:53], s[14:15], v[48:49]
	v_fma_f64 v[34:35], v[40:41], 2.0, -v[22:23]
	v_fma_f64 v[28:29], v[42:43], 2.0, -v[24:25]
	v_fma_f64 v[97:98], v[22:23], s[12:13], v[56:57]
	v_fma_f64 v[99:100], v[24:25], s[12:13], v[60:61]
	v_fma_f64 v[72:73], v[0:1], 2.0, -v[44:45]
	v_fma_f64 v[76:77], v[30:31], s[10:11], v[58:59]
	v_fma_f64 v[74:75], v[2:3], 2.0, -v[46:47]
	v_fma_f64 v[40:41], v[14:15], s[0:1], v[62:63]
	v_fma_f64 v[42:43], v[12:13], s[0:1], v[64:65]
	;; [unrolled: 1-line block ×4, first 2 shown]
	v_fma_f64 v[32:33], v[32:33], 2.0, -v[10:11]
	v_fma_f64 v[38:39], v[38:39], 2.0, -v[8:9]
	v_fma_f64 v[2:3], v[18:19], s[2:3], v[6:7]
	v_fma_f64 v[6:7], v[52:53], s[12:13], v[36:37]
	v_add_f64 v[8:9], v[44:45], -v[8:9]
	v_add_f64 v[10:11], v[46:47], v[10:11]
	v_fma_f64 v[4:5], v[54:55], s[10:11], v[26:27]
	v_fma_f64 v[101:102], v[34:35], s[6:7], v[68:69]
	;; [unrolled: 1-line block ×9, first 2 shown]
	s_add_u32 s1, s4, 0x7cb0
	v_add_f64 v[24:25], v[72:73], -v[32:33]
	v_add_f64 v[26:27], v[74:75], -v[38:39]
	v_fma_f64 v[32:33], v[93:94], 2.0, -v[0:1]
	v_fma_f64 v[38:39], v[50:51], 2.0, -v[6:7]
	;; [unrolled: 1-line block ×4, first 2 shown]
	s_addc_u32 s2, s5, 0
	s_mov_b32 s3, exec_lo
	v_fma_f64 v[36:37], v[48:49], 2.0, -v[4:5]
	v_fma_f64 v[28:29], v[28:29], s[10:11], v[101:102]
	v_fma_f64 v[30:31], v[34:35], s[12:13], v[103:104]
	v_fma_f64 v[34:35], v[95:96], 2.0, -v[2:3]
	v_fma_f64 v[52:53], v[56:57], 2.0, -v[20:21]
	;; [unrolled: 1-line block ×11, first 2 shown]
	ds_store_b128 v89, v[0:3] offset:28000
	ds_store_b128 v89, v[4:7] offset:30000
	;; [unrolled: 1-line block ×14, first 2 shown]
	ds_store_b128 v89, v[56:59]
	ds_store_b128 v89, v[60:63] offset:2000
	s_waitcnt lgkmcnt(0)
	s_barrier
	buffer_gl0_inv
	ds_load_b128 v[4:7], v89
	v_lshlrev_b32_e32 v0, 4, v80
                                        ; implicit-def: $vgpr8_vgpr9
                                        ; implicit-def: $vgpr10_vgpr11
	s_delay_alu instid0(VALU_DEP_1)
	v_sub_nc_u32_e32 v12, 0, v0
                                        ; implicit-def: $vgpr0_vgpr1
	v_cmpx_ne_u32_e32 0, v80
	s_xor_b32 s3, exec_lo, s3
	s_cbranch_execz .LBB0_25
; %bb.24:
	v_mov_b32_e32 v81, 0
	s_delay_alu instid0(VALU_DEP_1) | instskip(NEXT) | instid1(VALU_DEP_1)
	v_lshlrev_b64 v[0:1], 4, v[80:81]
	v_add_co_u32 v0, s0, s1, v0
	s_delay_alu instid0(VALU_DEP_1)
	v_add_co_ci_u32_e64 v1, s0, s2, v1, s0
	global_load_b128 v[13:16], v[0:1], off
	ds_load_b128 v[0:3], v12 offset:32000
	s_waitcnt lgkmcnt(0)
	v_add_f64 v[8:9], v[4:5], -v[0:1]
	v_add_f64 v[10:11], v[6:7], v[2:3]
	v_add_f64 v[2:3], v[6:7], -v[2:3]
	v_add_f64 v[0:1], v[4:5], v[0:1]
	s_delay_alu instid0(VALU_DEP_4) | instskip(NEXT) | instid1(VALU_DEP_4)
	v_mul_f64 v[6:7], v[8:9], 0.5
	v_mul_f64 v[4:5], v[10:11], 0.5
	s_delay_alu instid0(VALU_DEP_4) | instskip(SKIP_1) | instid1(VALU_DEP_3)
	v_mul_f64 v[2:3], v[2:3], 0.5
	s_waitcnt vmcnt(0)
	v_mul_f64 v[8:9], v[6:7], v[15:16]
	s_delay_alu instid0(VALU_DEP_2) | instskip(SKIP_1) | instid1(VALU_DEP_3)
	v_fma_f64 v[10:11], v[4:5], v[15:16], v[2:3]
	v_fma_f64 v[2:3], v[4:5], v[15:16], -v[2:3]
	v_fma_f64 v[17:18], v[0:1], 0.5, v[8:9]
	v_fma_f64 v[0:1], v[0:1], 0.5, -v[8:9]
	s_delay_alu instid0(VALU_DEP_4) | instskip(NEXT) | instid1(VALU_DEP_4)
	v_fma_f64 v[10:11], -v[13:14], v[6:7], v[10:11]
	v_fma_f64 v[2:3], -v[13:14], v[6:7], v[2:3]
	s_delay_alu instid0(VALU_DEP_4) | instskip(NEXT) | instid1(VALU_DEP_4)
	v_fma_f64 v[8:9], v[4:5], v[13:14], v[17:18]
	v_fma_f64 v[0:1], -v[4:5], v[13:14], v[0:1]
                                        ; implicit-def: $vgpr4_vgpr5
.LBB0_25:
	s_and_not1_saveexec_b32 s0, s3
	s_cbranch_execz .LBB0_27
; %bb.26:
	s_waitcnt lgkmcnt(0)
	v_add_f64 v[8:9], v[4:5], v[6:7]
	v_add_f64 v[0:1], v[4:5], -v[6:7]
	v_mov_b32_e32 v6, 0
	v_mov_b32_e32 v10, 0
	;; [unrolled: 1-line block ×3, first 2 shown]
	s_delay_alu instid0(VALU_DEP_2)
	v_mov_b32_e32 v2, v10
	ds_load_b64 v[4:5], v6 offset:16008
	v_mov_b32_e32 v3, v11
	s_waitcnt lgkmcnt(0)
	v_xor_b32_e32 v5, 0x80000000, v5
	ds_store_b64 v6, v[4:5] offset:16008
.LBB0_27:
	s_or_b32 exec_lo, exec_lo, s0
	v_mov_b32_e32 v83, 0
	s_waitcnt lgkmcnt(0)
	s_delay_alu instid0(VALU_DEP_1) | instskip(SKIP_2) | instid1(VALU_DEP_3)
	v_lshlrev_b64 v[4:5], 4, v[82:83]
	v_add_nc_u32_e32 v82, 0x1f4, v80
	v_mov_b32_e32 v88, v83
	v_add_co_u32 v4, s0, s1, v4
	s_delay_alu instid0(VALU_DEP_1) | instskip(NEXT) | instid1(VALU_DEP_3)
	v_add_co_ci_u32_e64 v5, s0, s2, v5, s0
	v_lshlrev_b64 v[13:14], 4, v[87:88]
	v_mov_b32_e32 v87, v83
	global_load_b128 v[4:7], v[4:5], off
	v_add_co_u32 v13, s0, s1, v13
	s_delay_alu instid0(VALU_DEP_1)
	v_add_co_ci_u32_e64 v14, s0, s2, v14, s0
	global_load_b128 v[13:16], v[13:14], off
	ds_store_2addr_b64 v89, v[8:9], v[10:11] offset1:1
	ds_store_b128 v12, v[0:3] offset:32000
	ds_load_b128 v[0:3], v92
	ds_load_b128 v[8:11], v12 offset:30000
	s_waitcnt lgkmcnt(0)
	v_add_f64 v[17:18], v[0:1], -v[8:9]
	v_add_f64 v[19:20], v[2:3], v[10:11]
	v_add_f64 v[2:3], v[2:3], -v[10:11]
	v_add_f64 v[0:1], v[0:1], v[8:9]
	s_delay_alu instid0(VALU_DEP_4) | instskip(NEXT) | instid1(VALU_DEP_4)
	v_mul_f64 v[10:11], v[17:18], 0.5
	v_mul_f64 v[17:18], v[19:20], 0.5
	s_delay_alu instid0(VALU_DEP_4) | instskip(SKIP_1) | instid1(VALU_DEP_3)
	v_mul_f64 v[2:3], v[2:3], 0.5
	s_waitcnt vmcnt(1)
	v_mul_f64 v[8:9], v[10:11], v[6:7]
	s_delay_alu instid0(VALU_DEP_2) | instskip(SKIP_1) | instid1(VALU_DEP_3)
	v_fma_f64 v[19:20], v[17:18], v[6:7], v[2:3]
	v_fma_f64 v[2:3], v[17:18], v[6:7], -v[2:3]
	v_fma_f64 v[6:7], v[0:1], 0.5, v[8:9]
	v_fma_f64 v[0:1], v[0:1], 0.5, -v[8:9]
	s_delay_alu instid0(VALU_DEP_4) | instskip(NEXT) | instid1(VALU_DEP_4)
	v_fma_f64 v[8:9], -v[4:5], v[10:11], v[19:20]
	v_fma_f64 v[10:11], -v[4:5], v[10:11], v[2:3]
	s_delay_alu instid0(VALU_DEP_4) | instskip(NEXT) | instid1(VALU_DEP_4)
	v_fma_f64 v[6:7], v[17:18], v[4:5], v[6:7]
	v_fma_f64 v[4:5], -v[17:18], v[4:5], v[0:1]
	v_lshlrev_b64 v[0:1], 4, v[86:87]
	s_delay_alu instid0(VALU_DEP_1) | instskip(NEXT) | instid1(VALU_DEP_1)
	v_add_co_u32 v0, s0, s1, v0
	v_add_co_ci_u32_e64 v1, s0, s2, v1, s0
	global_load_b128 v[0:3], v[0:1], off
	ds_store_b64 v92, v[8:9] offset:8
	ds_store_b64 v12, v[10:11] offset:30008
	ds_store_b64 v92, v[6:7]
	ds_store_b64 v12, v[4:5] offset:30000
	ds_load_b128 v[4:7], v91
	ds_load_b128 v[8:11], v12 offset:28000
	s_waitcnt lgkmcnt(0)
	v_add_f64 v[17:18], v[4:5], -v[8:9]
	v_add_f64 v[19:20], v[6:7], v[10:11]
	v_add_f64 v[6:7], v[6:7], -v[10:11]
	v_add_f64 v[4:5], v[4:5], v[8:9]
	s_delay_alu instid0(VALU_DEP_4) | instskip(NEXT) | instid1(VALU_DEP_4)
	v_mul_f64 v[10:11], v[17:18], 0.5
	v_mul_f64 v[17:18], v[19:20], 0.5
	s_delay_alu instid0(VALU_DEP_4) | instskip(SKIP_1) | instid1(VALU_DEP_3)
	v_mul_f64 v[6:7], v[6:7], 0.5
	s_waitcnt vmcnt(1)
	v_mul_f64 v[8:9], v[10:11], v[15:16]
	s_delay_alu instid0(VALU_DEP_2) | instskip(SKIP_1) | instid1(VALU_DEP_3)
	v_fma_f64 v[19:20], v[17:18], v[15:16], v[6:7]
	v_fma_f64 v[6:7], v[17:18], v[15:16], -v[6:7]
	v_fma_f64 v[15:16], v[4:5], 0.5, v[8:9]
	v_fma_f64 v[4:5], v[4:5], 0.5, -v[8:9]
	s_delay_alu instid0(VALU_DEP_4) | instskip(NEXT) | instid1(VALU_DEP_4)
	v_fma_f64 v[8:9], -v[13:14], v[10:11], v[19:20]
	v_fma_f64 v[10:11], -v[13:14], v[10:11], v[6:7]
	s_delay_alu instid0(VALU_DEP_4) | instskip(NEXT) | instid1(VALU_DEP_4)
	v_fma_f64 v[15:16], v[17:18], v[13:14], v[15:16]
	v_fma_f64 v[13:14], -v[17:18], v[13:14], v[4:5]
	v_lshlrev_b64 v[4:5], 4, v[82:83]
	v_add_nc_u32_e32 v82, 0x271, v80
	s_delay_alu instid0(VALU_DEP_2) | instskip(NEXT) | instid1(VALU_DEP_1)
	v_add_co_u32 v4, s0, s1, v4
	v_add_co_ci_u32_e64 v5, s0, s2, v5, s0
	global_load_b128 v[4:7], v[4:5], off
	ds_store_b64 v91, v[8:9] offset:8
	ds_store_b64 v12, v[10:11] offset:28008
	ds_store_b64 v91, v[15:16]
	ds_store_b64 v12, v[13:14] offset:28000
	ds_load_b128 v[8:11], v90
	ds_load_b128 v[13:16], v12 offset:26000
	s_waitcnt lgkmcnt(0)
	v_add_f64 v[17:18], v[8:9], -v[13:14]
	v_add_f64 v[19:20], v[10:11], v[15:16]
	v_add_f64 v[10:11], v[10:11], -v[15:16]
	v_add_f64 v[8:9], v[8:9], v[13:14]
	s_delay_alu instid0(VALU_DEP_4) | instskip(NEXT) | instid1(VALU_DEP_4)
	v_mul_f64 v[15:16], v[17:18], 0.5
	v_mul_f64 v[17:18], v[19:20], 0.5
	s_delay_alu instid0(VALU_DEP_4) | instskip(SKIP_1) | instid1(VALU_DEP_3)
	v_mul_f64 v[10:11], v[10:11], 0.5
	s_waitcnt vmcnt(1)
	v_mul_f64 v[13:14], v[15:16], v[2:3]
	s_delay_alu instid0(VALU_DEP_2) | instskip(SKIP_1) | instid1(VALU_DEP_3)
	v_fma_f64 v[19:20], v[17:18], v[2:3], v[10:11]
	v_fma_f64 v[2:3], v[17:18], v[2:3], -v[10:11]
	v_fma_f64 v[10:11], v[8:9], 0.5, v[13:14]
	v_fma_f64 v[8:9], v[8:9], 0.5, -v[13:14]
	s_delay_alu instid0(VALU_DEP_4) | instskip(NEXT) | instid1(VALU_DEP_4)
	v_fma_f64 v[13:14], -v[0:1], v[15:16], v[19:20]
	v_fma_f64 v[2:3], -v[0:1], v[15:16], v[2:3]
	s_delay_alu instid0(VALU_DEP_4) | instskip(NEXT) | instid1(VALU_DEP_4)
	v_fma_f64 v[15:16], v[17:18], v[0:1], v[10:11]
	v_fma_f64 v[0:1], -v[17:18], v[0:1], v[8:9]
	v_lshlrev_b64 v[8:9], 4, v[82:83]
	v_add_nc_u32_e32 v82, 0x2ee, v80
	s_delay_alu instid0(VALU_DEP_2) | instskip(NEXT) | instid1(VALU_DEP_1)
	v_add_co_u32 v8, s0, s1, v8
	v_add_co_ci_u32_e64 v9, s0, s2, v9, s0
	global_load_b128 v[8:11], v[8:9], off
	ds_store_2addr_b64 v90, v[15:16], v[13:14] offset1:1
	ds_store_b128 v12, v[0:3] offset:26000
	ds_load_b128 v[0:3], v89 offset:8000
	ds_load_b128 v[13:16], v12 offset:24000
	s_waitcnt lgkmcnt(0)
	v_add_f64 v[17:18], v[0:1], -v[13:14]
	v_add_f64 v[19:20], v[2:3], v[15:16]
	v_add_f64 v[2:3], v[2:3], -v[15:16]
	v_add_f64 v[0:1], v[0:1], v[13:14]
	s_delay_alu instid0(VALU_DEP_4) | instskip(NEXT) | instid1(VALU_DEP_4)
	v_mul_f64 v[15:16], v[17:18], 0.5
	v_mul_f64 v[17:18], v[19:20], 0.5
	s_delay_alu instid0(VALU_DEP_4) | instskip(SKIP_1) | instid1(VALU_DEP_3)
	v_mul_f64 v[2:3], v[2:3], 0.5
	s_waitcnt vmcnt(1)
	v_mul_f64 v[13:14], v[15:16], v[6:7]
	s_delay_alu instid0(VALU_DEP_2) | instskip(SKIP_1) | instid1(VALU_DEP_3)
	v_fma_f64 v[19:20], v[17:18], v[6:7], v[2:3]
	v_fma_f64 v[2:3], v[17:18], v[6:7], -v[2:3]
	v_fma_f64 v[6:7], v[0:1], 0.5, v[13:14]
	v_fma_f64 v[0:1], v[0:1], 0.5, -v[13:14]
	s_delay_alu instid0(VALU_DEP_4) | instskip(NEXT) | instid1(VALU_DEP_4)
	v_fma_f64 v[13:14], -v[4:5], v[15:16], v[19:20]
	v_fma_f64 v[2:3], -v[4:5], v[15:16], v[2:3]
	s_delay_alu instid0(VALU_DEP_4) | instskip(NEXT) | instid1(VALU_DEP_4)
	v_fma_f64 v[15:16], v[17:18], v[4:5], v[6:7]
	v_fma_f64 v[0:1], -v[17:18], v[4:5], v[0:1]
	v_lshlrev_b64 v[4:5], 4, v[82:83]
	v_add_nc_u32_e32 v17, 0x1800, v89
	v_add_nc_u32_e32 v82, 0x36b, v80
	s_delay_alu instid0(VALU_DEP_3) | instskip(NEXT) | instid1(VALU_DEP_1)
	v_add_co_u32 v4, s0, s1, v4
	v_add_co_ci_u32_e64 v5, s0, s2, v5, s0
	global_load_b128 v[4:7], v[4:5], off
	ds_store_2addr_b64 v17, v[15:16], v[13:14] offset0:232 offset1:233
	ds_store_b128 v12, v[0:3] offset:24000
	ds_load_b128 v[0:3], v89 offset:10000
	ds_load_b128 v[13:16], v12 offset:22000
	s_waitcnt lgkmcnt(0)
	v_add_f64 v[17:18], v[0:1], -v[13:14]
	v_add_f64 v[19:20], v[2:3], v[15:16]
	v_add_f64 v[2:3], v[2:3], -v[15:16]
	v_add_f64 v[0:1], v[0:1], v[13:14]
	s_delay_alu instid0(VALU_DEP_4) | instskip(NEXT) | instid1(VALU_DEP_4)
	v_mul_f64 v[15:16], v[17:18], 0.5
	v_mul_f64 v[17:18], v[19:20], 0.5
	s_delay_alu instid0(VALU_DEP_4) | instskip(SKIP_1) | instid1(VALU_DEP_3)
	v_mul_f64 v[2:3], v[2:3], 0.5
	s_waitcnt vmcnt(1)
	v_mul_f64 v[13:14], v[15:16], v[10:11]
	s_delay_alu instid0(VALU_DEP_2) | instskip(SKIP_1) | instid1(VALU_DEP_3)
	v_fma_f64 v[19:20], v[17:18], v[10:11], v[2:3]
	v_fma_f64 v[2:3], v[17:18], v[10:11], -v[2:3]
	v_fma_f64 v[10:11], v[0:1], 0.5, v[13:14]
	v_fma_f64 v[0:1], v[0:1], 0.5, -v[13:14]
	s_delay_alu instid0(VALU_DEP_4) | instskip(NEXT) | instid1(VALU_DEP_4)
	v_fma_f64 v[13:14], -v[8:9], v[15:16], v[19:20]
	v_fma_f64 v[2:3], -v[8:9], v[15:16], v[2:3]
	s_delay_alu instid0(VALU_DEP_4) | instskip(NEXT) | instid1(VALU_DEP_4)
	v_fma_f64 v[15:16], v[17:18], v[8:9], v[10:11]
	v_fma_f64 v[0:1], -v[17:18], v[8:9], v[0:1]
	v_lshlrev_b64 v[8:9], 4, v[82:83]
	v_add_nc_u32_e32 v17, 0x2000, v89
	s_delay_alu instid0(VALU_DEP_2) | instskip(NEXT) | instid1(VALU_DEP_1)
	v_add_co_u32 v8, s0, s1, v8
	v_add_co_ci_u32_e64 v9, s0, s2, v9, s0
	global_load_b128 v[8:11], v[8:9], off
	ds_store_2addr_b64 v17, v[15:16], v[13:14] offset0:226 offset1:227
	ds_store_b128 v12, v[0:3] offset:22000
	ds_load_b128 v[0:3], v89 offset:12000
	ds_load_b128 v[13:16], v12 offset:20000
	s_waitcnt lgkmcnt(0)
	v_add_f64 v[17:18], v[0:1], -v[13:14]
	v_add_f64 v[19:20], v[2:3], v[15:16]
	v_add_f64 v[2:3], v[2:3], -v[15:16]
	v_add_f64 v[0:1], v[0:1], v[13:14]
	s_delay_alu instid0(VALU_DEP_4) | instskip(NEXT) | instid1(VALU_DEP_4)
	v_mul_f64 v[15:16], v[17:18], 0.5
	v_mul_f64 v[17:18], v[19:20], 0.5
	s_delay_alu instid0(VALU_DEP_4) | instskip(SKIP_1) | instid1(VALU_DEP_3)
	v_mul_f64 v[2:3], v[2:3], 0.5
	s_waitcnt vmcnt(1)
	v_mul_f64 v[13:14], v[15:16], v[6:7]
	s_delay_alu instid0(VALU_DEP_2) | instskip(SKIP_1) | instid1(VALU_DEP_3)
	v_fma_f64 v[19:20], v[17:18], v[6:7], v[2:3]
	v_fma_f64 v[2:3], v[17:18], v[6:7], -v[2:3]
	v_fma_f64 v[6:7], v[0:1], 0.5, v[13:14]
	v_fma_f64 v[0:1], v[0:1], 0.5, -v[13:14]
	s_delay_alu instid0(VALU_DEP_4) | instskip(NEXT) | instid1(VALU_DEP_4)
	v_fma_f64 v[13:14], -v[4:5], v[15:16], v[19:20]
	v_fma_f64 v[2:3], -v[4:5], v[15:16], v[2:3]
	s_delay_alu instid0(VALU_DEP_4) | instskip(NEXT) | instid1(VALU_DEP_4)
	v_fma_f64 v[6:7], v[17:18], v[4:5], v[6:7]
	v_fma_f64 v[0:1], -v[17:18], v[4:5], v[0:1]
	v_add_nc_u32_e32 v4, 0x2800, v89
	ds_store_2addr_b64 v4, v[6:7], v[13:14] offset0:220 offset1:221
	ds_store_b128 v12, v[0:3] offset:20000
	ds_load_b128 v[0:3], v89 offset:14000
	ds_load_b128 v[4:7], v12 offset:18000
	s_waitcnt lgkmcnt(0)
	v_add_f64 v[13:14], v[0:1], -v[4:5]
	v_add_f64 v[15:16], v[2:3], v[6:7]
	v_add_f64 v[2:3], v[2:3], -v[6:7]
	v_add_f64 v[0:1], v[0:1], v[4:5]
	s_delay_alu instid0(VALU_DEP_4) | instskip(NEXT) | instid1(VALU_DEP_4)
	v_mul_f64 v[6:7], v[13:14], 0.5
	v_mul_f64 v[13:14], v[15:16], 0.5
	s_delay_alu instid0(VALU_DEP_4) | instskip(SKIP_1) | instid1(VALU_DEP_3)
	v_mul_f64 v[2:3], v[2:3], 0.5
	s_waitcnt vmcnt(0)
	v_mul_f64 v[4:5], v[6:7], v[10:11]
	s_delay_alu instid0(VALU_DEP_2) | instskip(SKIP_1) | instid1(VALU_DEP_3)
	v_fma_f64 v[15:16], v[13:14], v[10:11], v[2:3]
	v_fma_f64 v[2:3], v[13:14], v[10:11], -v[2:3]
	v_fma_f64 v[10:11], v[0:1], 0.5, v[4:5]
	v_fma_f64 v[0:1], v[0:1], 0.5, -v[4:5]
	s_delay_alu instid0(VALU_DEP_4) | instskip(NEXT) | instid1(VALU_DEP_4)
	v_fma_f64 v[4:5], -v[8:9], v[6:7], v[15:16]
	v_fma_f64 v[2:3], -v[8:9], v[6:7], v[2:3]
	s_delay_alu instid0(VALU_DEP_4) | instskip(NEXT) | instid1(VALU_DEP_4)
	v_fma_f64 v[6:7], v[13:14], v[8:9], v[10:11]
	v_fma_f64 v[0:1], -v[13:14], v[8:9], v[0:1]
	v_add_nc_u32_e32 v8, 0x3000, v89
	ds_store_2addr_b64 v8, v[6:7], v[4:5] offset0:214 offset1:215
	ds_store_b128 v12, v[0:3] offset:18000
	s_waitcnt lgkmcnt(0)
	s_barrier
	buffer_gl0_inv
	s_and_saveexec_b32 s0, vcc_lo
	s_cbranch_execz .LBB0_30
; %bb.28:
	v_mov_b32_e32 v81, v83
	ds_load_b128 v[2:5], v89
	ds_load_b128 v[6:9], v89 offset:2000
	ds_load_b128 v[10:13], v89 offset:4000
	;; [unrolled: 1-line block ×5, first 2 shown]
	v_add_co_u32 v0, vcc_lo, s8, v84
	v_add_co_ci_u32_e32 v1, vcc_lo, s9, v85, vcc_lo
	v_lshlrev_b64 v[26:27], 4, v[80:81]
	s_delay_alu instid0(VALU_DEP_1) | instskip(NEXT) | instid1(VALU_DEP_2)
	v_add_co_u32 v42, vcc_lo, v0, v26
	v_add_co_ci_u32_e32 v43, vcc_lo, v1, v27, vcc_lo
	s_delay_alu instid0(VALU_DEP_2) | instskip(NEXT) | instid1(VALU_DEP_2)
	v_add_co_u32 v26, vcc_lo, 0x1000, v42
	v_add_co_ci_u32_e32 v27, vcc_lo, 0, v43, vcc_lo
	v_add_co_u32 v44, vcc_lo, 0x2000, v42
	v_add_co_ci_u32_e32 v45, vcc_lo, 0, v43, vcc_lo
	s_waitcnt lgkmcnt(5)
	global_store_b128 v[42:43], v[2:5], off
	s_waitcnt lgkmcnt(4)
	global_store_b128 v[42:43], v[6:9], off offset:2000
	s_waitcnt lgkmcnt(3)
	global_store_b128 v[42:43], v[10:13], off offset:4000
	;; [unrolled: 2-line block ×5, first 2 shown]
	ds_load_b128 v[2:5], v89 offset:12000
	ds_load_b128 v[6:9], v89 offset:14000
	;; [unrolled: 1-line block ×6, first 2 shown]
	v_add_co_u32 v46, vcc_lo, 0x3000, v42
	ds_load_b128 v[26:29], v89 offset:24000
	ds_load_b128 v[30:33], v89 offset:26000
	ds_load_b128 v[34:37], v89 offset:28000
	ds_load_b128 v[38:41], v89 offset:30000
	v_add_co_ci_u32_e32 v47, vcc_lo, 0, v43, vcc_lo
	v_add_co_u32 v48, vcc_lo, 0x4000, v42
	v_add_co_ci_u32_e32 v49, vcc_lo, 0, v43, vcc_lo
	v_add_co_u32 v50, vcc_lo, 0x5000, v42
	v_add_co_ci_u32_e32 v51, vcc_lo, 0, v43, vcc_lo
	s_waitcnt lgkmcnt(9)
	global_store_b128 v[44:45], v[2:5], off offset:3808
	s_waitcnt lgkmcnt(8)
	global_store_b128 v[46:47], v[6:9], off offset:1712
	;; [unrolled: 2-line block ×6, first 2 shown]
	v_add_co_u32 v2, vcc_lo, 0x6000, v42
	v_add_co_ci_u32_e32 v3, vcc_lo, 0, v43, vcc_lo
	v_add_co_u32 v4, vcc_lo, 0x7000, v42
	v_add_co_ci_u32_e32 v5, vcc_lo, 0, v43, vcc_lo
	v_cmp_eq_u32_e32 vcc_lo, 0x7c, v80
	s_waitcnt lgkmcnt(3)
	global_store_b128 v[50:51], v[26:29], off offset:3520
	s_waitcnt lgkmcnt(2)
	global_store_b128 v[2:3], v[30:33], off offset:1424
	;; [unrolled: 2-line block ×4, first 2 shown]
	s_and_b32 exec_lo, exec_lo, vcc_lo
	s_cbranch_execz .LBB0_30
; %bb.29:
	v_mov_b32_e32 v2, 0
	v_add_co_u32 v0, vcc_lo, 0x7000, v0
	v_add_co_ci_u32_e32 v1, vcc_lo, 0, v1, vcc_lo
	ds_load_b128 v[2:5], v2 offset:32000
	s_waitcnt lgkmcnt(0)
	global_store_b128 v[0:1], v[2:5], off offset:3328
.LBB0_30:
	s_nop 0
	s_sendmsg sendmsg(MSG_DEALLOC_VGPRS)
	s_endpgm
	.section	.rodata,"a",@progbits
	.p2align	6, 0x0
	.amdhsa_kernel fft_rtc_fwd_len2000_factors_5_5_5_16_wgs_125_tpt_125_halfLds_dp_ip_CI_unitstride_sbrr_R2C_dirReg
		.amdhsa_group_segment_fixed_size 0
		.amdhsa_private_segment_fixed_size 0
		.amdhsa_kernarg_size 88
		.amdhsa_user_sgpr_count 15
		.amdhsa_user_sgpr_dispatch_ptr 0
		.amdhsa_user_sgpr_queue_ptr 0
		.amdhsa_user_sgpr_kernarg_segment_ptr 1
		.amdhsa_user_sgpr_dispatch_id 0
		.amdhsa_user_sgpr_private_segment_size 0
		.amdhsa_wavefront_size32 1
		.amdhsa_uses_dynamic_stack 0
		.amdhsa_enable_private_segment 0
		.amdhsa_system_sgpr_workgroup_id_x 1
		.amdhsa_system_sgpr_workgroup_id_y 0
		.amdhsa_system_sgpr_workgroup_id_z 0
		.amdhsa_system_sgpr_workgroup_info 0
		.amdhsa_system_vgpr_workitem_id 0
		.amdhsa_next_free_vgpr 204
		.amdhsa_next_free_sgpr 21
		.amdhsa_reserve_vcc 1
		.amdhsa_float_round_mode_32 0
		.amdhsa_float_round_mode_16_64 0
		.amdhsa_float_denorm_mode_32 3
		.amdhsa_float_denorm_mode_16_64 3
		.amdhsa_dx10_clamp 1
		.amdhsa_ieee_mode 1
		.amdhsa_fp16_overflow 0
		.amdhsa_workgroup_processor_mode 1
		.amdhsa_memory_ordered 1
		.amdhsa_forward_progress 0
		.amdhsa_shared_vgpr_count 0
		.amdhsa_exception_fp_ieee_invalid_op 0
		.amdhsa_exception_fp_denorm_src 0
		.amdhsa_exception_fp_ieee_div_zero 0
		.amdhsa_exception_fp_ieee_overflow 0
		.amdhsa_exception_fp_ieee_underflow 0
		.amdhsa_exception_fp_ieee_inexact 0
		.amdhsa_exception_int_div_zero 0
	.end_amdhsa_kernel
	.text
.Lfunc_end0:
	.size	fft_rtc_fwd_len2000_factors_5_5_5_16_wgs_125_tpt_125_halfLds_dp_ip_CI_unitstride_sbrr_R2C_dirReg, .Lfunc_end0-fft_rtc_fwd_len2000_factors_5_5_5_16_wgs_125_tpt_125_halfLds_dp_ip_CI_unitstride_sbrr_R2C_dirReg
                                        ; -- End function
	.section	.AMDGPU.csdata,"",@progbits
; Kernel info:
; codeLenInByte = 15660
; NumSgprs: 23
; NumVgprs: 204
; ScratchSize: 0
; MemoryBound: 0
; FloatMode: 240
; IeeeMode: 1
; LDSByteSize: 0 bytes/workgroup (compile time only)
; SGPRBlocks: 2
; VGPRBlocks: 25
; NumSGPRsForWavesPerEU: 23
; NumVGPRsForWavesPerEU: 204
; Occupancy: 7
; WaveLimiterHint : 1
; COMPUTE_PGM_RSRC2:SCRATCH_EN: 0
; COMPUTE_PGM_RSRC2:USER_SGPR: 15
; COMPUTE_PGM_RSRC2:TRAP_HANDLER: 0
; COMPUTE_PGM_RSRC2:TGID_X_EN: 1
; COMPUTE_PGM_RSRC2:TGID_Y_EN: 0
; COMPUTE_PGM_RSRC2:TGID_Z_EN: 0
; COMPUTE_PGM_RSRC2:TIDIG_COMP_CNT: 0
	.text
	.p2alignl 7, 3214868480
	.fill 96, 4, 3214868480
	.type	__hip_cuid_f3d1fe73587c1cef,@object ; @__hip_cuid_f3d1fe73587c1cef
	.section	.bss,"aw",@nobits
	.globl	__hip_cuid_f3d1fe73587c1cef
__hip_cuid_f3d1fe73587c1cef:
	.byte	0                               ; 0x0
	.size	__hip_cuid_f3d1fe73587c1cef, 1

	.ident	"AMD clang version 19.0.0git (https://github.com/RadeonOpenCompute/llvm-project roc-6.4.0 25133 c7fe45cf4b819c5991fe208aaa96edf142730f1d)"
	.section	".note.GNU-stack","",@progbits
	.addrsig
	.addrsig_sym __hip_cuid_f3d1fe73587c1cef
	.amdgpu_metadata
---
amdhsa.kernels:
  - .args:
      - .actual_access:  read_only
        .address_space:  global
        .offset:         0
        .size:           8
        .value_kind:     global_buffer
      - .offset:         8
        .size:           8
        .value_kind:     by_value
      - .actual_access:  read_only
        .address_space:  global
        .offset:         16
        .size:           8
        .value_kind:     global_buffer
      - .actual_access:  read_only
        .address_space:  global
        .offset:         24
        .size:           8
        .value_kind:     global_buffer
      - .offset:         32
        .size:           8
        .value_kind:     by_value
      - .actual_access:  read_only
        .address_space:  global
        .offset:         40
        .size:           8
        .value_kind:     global_buffer
      - .actual_access:  read_only
        .address_space:  global
        .offset:         48
        .size:           8
        .value_kind:     global_buffer
      - .offset:         56
        .size:           4
        .value_kind:     by_value
      - .actual_access:  read_only
        .address_space:  global
        .offset:         64
        .size:           8
        .value_kind:     global_buffer
      - .actual_access:  read_only
        .address_space:  global
        .offset:         72
        .size:           8
        .value_kind:     global_buffer
      - .address_space:  global
        .offset:         80
        .size:           8
        .value_kind:     global_buffer
    .group_segment_fixed_size: 0
    .kernarg_segment_align: 8
    .kernarg_segment_size: 88
    .language:       OpenCL C
    .language_version:
      - 2
      - 0
    .max_flat_workgroup_size: 125
    .name:           fft_rtc_fwd_len2000_factors_5_5_5_16_wgs_125_tpt_125_halfLds_dp_ip_CI_unitstride_sbrr_R2C_dirReg
    .private_segment_fixed_size: 0
    .sgpr_count:     23
    .sgpr_spill_count: 0
    .symbol:         fft_rtc_fwd_len2000_factors_5_5_5_16_wgs_125_tpt_125_halfLds_dp_ip_CI_unitstride_sbrr_R2C_dirReg.kd
    .uniform_work_group_size: 1
    .uses_dynamic_stack: false
    .vgpr_count:     204
    .vgpr_spill_count: 0
    .wavefront_size: 32
    .workgroup_processor_mode: 1
amdhsa.target:   amdgcn-amd-amdhsa--gfx1100
amdhsa.version:
  - 1
  - 2
...

	.end_amdgpu_metadata
